;; amdgpu-corpus repo=ROCm/rocSPARSE kind=compiled arch=gfx950 opt=O3
	.amdgcn_target "amdgcn-amd-amdhsa--gfx950"
	.amdhsa_code_object_version 6
	.section	.text._ZN9rocsparse31csrmmnn_row_split_shared_kernelILj256ELj8EfiifffEEvNS_24const_host_device_scalarIT1_EES3_bbbT3_S4_llPKT2_PKS4_PKT4_PKT5_llPT6_ll16rocsparse_order_21rocsparse_index_base_,"axG",@progbits,_ZN9rocsparse31csrmmnn_row_split_shared_kernelILj256ELj8EfiifffEEvNS_24const_host_device_scalarIT1_EES3_bbbT3_S4_llPKT2_PKS4_PKT4_PKT5_llPT6_ll16rocsparse_order_21rocsparse_index_base_,comdat
	.protected	_ZN9rocsparse31csrmmnn_row_split_shared_kernelILj256ELj8EfiifffEEvNS_24const_host_device_scalarIT1_EES3_bbbT3_S4_llPKT2_PKS4_PKT4_PKT5_llPT6_ll16rocsparse_order_21rocsparse_index_base_ ; -- Begin function _ZN9rocsparse31csrmmnn_row_split_shared_kernelILj256ELj8EfiifffEEvNS_24const_host_device_scalarIT1_EES3_bbbT3_S4_llPKT2_PKS4_PKT4_PKT5_llPT6_ll16rocsparse_order_21rocsparse_index_base_
	.globl	_ZN9rocsparse31csrmmnn_row_split_shared_kernelILj256ELj8EfiifffEEvNS_24const_host_device_scalarIT1_EES3_bbbT3_S4_llPKT2_PKS4_PKT4_PKT5_llPT6_ll16rocsparse_order_21rocsparse_index_base_
	.p2align	8
	.type	_ZN9rocsparse31csrmmnn_row_split_shared_kernelILj256ELj8EfiifffEEvNS_24const_host_device_scalarIT1_EES3_bbbT3_S4_llPKT2_PKS4_PKT4_PKT5_llPT6_ll16rocsparse_order_21rocsparse_index_base_,@function
_ZN9rocsparse31csrmmnn_row_split_shared_kernelILj256ELj8EfiifffEEvNS_24const_host_device_scalarIT1_EES3_bbbT3_S4_llPKT2_PKS4_PKT4_PKT5_llPT6_ll16rocsparse_order_21rocsparse_index_base_: ; @_ZN9rocsparse31csrmmnn_row_split_shared_kernelILj256ELj8EfiifffEEvNS_24const_host_device_scalarIT1_EES3_bbbT3_S4_llPKT2_PKS4_PKT4_PKT5_llPT6_ll16rocsparse_order_21rocsparse_index_base_
; %bb.0:
	s_load_dwordx8 s[24:31], s[0:1], 0x0
	s_waitcnt lgkmcnt(0)
	s_bitcmp1_b32 s28, 0
	s_cselect_b64 s[8:9], -1, 0
	s_xor_b64 s[6:7], s[8:9], -1
	s_and_b64 vcc, exec, s[8:9]
	s_cbranch_vccnz .LBB0_2
; %bb.1:
	s_load_dword s24, s[24:25], 0x0
.LBB0_2:
	s_andn2_b64 vcc, exec, s[6:7]
	s_cbranch_vccnz .LBB0_4
; %bb.3:
	s_load_dword s26, s[26:27], 0x0
.LBB0_4:
	s_waitcnt lgkmcnt(0)
	v_cmp_eq_f32_e64 s[6:7], s24, 0
	v_cmp_eq_f32_e64 s[8:9], s26, 1.0
	s_and_b64 s[6:7], s[6:7], s[8:9]
	s_and_b64 vcc, exec, s[6:7]
	s_cbranch_vccnz .LBB0_21
; %bb.5:
	v_lshl_or_b32 v1, s2, 8, v0
	v_lshrrev_b32_e32 v8, 3, v1
	v_cmp_gt_i32_e32 vcc, s29, v8
	s_and_saveexec_b64 s[6:7], vcc
	s_cbranch_execz .LBB0_21
; %bb.6:
	s_load_dwordx16 s[8:23], s[0:1], 0x20
	s_ashr_i32 s5, s4, 31
	v_lshlrev_b32_e32 v2, 2, v8
	v_and_b32_e32 v3, 7, v0
	v_lshl_or_b32 v4, s3, 3, v3
	s_waitcnt lgkmcnt(0)
	s_mul_hi_u32 s2, s8, s4
	s_mul_i32 s7, s8, s5
	s_mul_i32 s9, s9, s4
	s_add_i32 s2, s2, s7
	s_mul_i32 s6, s8, s4
	s_add_i32 s7, s2, s9
	s_lshl_b64 s[6:7], s[6:7], 2
	s_add_u32 s6, s12, s6
	s_addc_u32 s7, s13, s7
	global_load_dwordx2 v[6:7], v2, s[6:7]
	s_load_dwordx2 s[6:7], s[0:1], 0x78
	v_ashrrev_i32_e32 v5, 31, v4
	v_mov_b32_e32 v10, 0
	s_waitcnt vmcnt(0)
	v_cmp_lt_i32_e32 vcc, v6, v7
	s_and_saveexec_b64 s[8:9], vcc
	s_cbranch_execz .LBB0_14
; %bb.7:
	s_waitcnt lgkmcnt(0)
	v_subrev_u32_e32 v9, s7, v7
	v_subrev_u32_e32 v11, s7, v6
	v_mad_u64_u32 v[6:7], s[2:3], s20, v4, 0
	s_mul_i32 s2, s10, s5
	s_mul_hi_u32 s3, s10, s4
	v_lshlrev_b32_e32 v0, 2, v0
	s_add_i32 s2, s3, s2
	s_mul_i32 s3, s11, s4
	v_mul_lo_u32 v1, s21, v4
	v_mul_lo_u32 v10, s20, v5
	v_and_b32_e32 v12, 0x3e0, v0
	s_add_i32 s11, s2, s3
	s_mul_i32 s2, s22, s5
	s_mul_hi_u32 s3, s22, s4
	v_mov_b32_e32 v16, s18
	v_mov_b32_e32 v17, s19
	v_add3_u32 v7, v7, v10, v1
	v_lshlrev_b32_e32 v0, 2, v3
	v_or_b32_e32 v14, 0x400, v12
	s_add_i32 s2, s3, s2
	s_mul_i32 s3, s23, s4
	v_or_b32_e32 v13, v12, v0
	v_or_b32_e32 v15, v14, v0
	s_add_i32 s3, s2, s3
	s_mul_i32 s2, s22, s4
	v_lshl_add_u64 v[0:1], v[6:7], 2, v[16:17]
	s_mul_i32 s10, s10, s4
	v_cmp_gt_i32_e32 vcc, s30, v4
	v_lshl_add_u64 v[0:1], s[2:3], 2, v[0:1]
	v_mov_b32_e32 v10, 0
	s_mov_b64 s[12:13], 0
	s_branch .LBB0_9
.LBB0_8:                                ;   in Loop: Header=BB0_9 Depth=1
	s_or_b64 exec, exec, s[2:3]
	v_add_u32_e32 v11, 8, v11
	v_cmp_ge_i32_e64 s[2:3], v11, v9
	s_or_b64 s[12:13], s[2:3], s[12:13]
	s_andn2_b64 exec, exec, s[12:13]
	s_cbranch_execz .LBB0_13
.LBB0_9:                                ; =>This Inner Loop Header: Depth=1
	v_add_u32_e32 v6, v3, v11
	v_cmp_lt_i32_e64 s[2:3], v6, v9
	v_mov_b32_e32 v7, 0
	v_mov_b32_e32 v16, 0
	s_barrier
	s_and_saveexec_b64 s[18:19], s[2:3]
	s_cbranch_execz .LBB0_11
; %bb.10:                               ;   in Loop: Header=BB0_9 Depth=1
	v_ashrrev_i32_e32 v7, 31, v6
	v_lshl_add_u64 v[6:7], s[10:11], 0, v[6:7]
	v_lshlrev_b64 v[6:7], 2, v[6:7]
	v_lshl_add_u64 v[16:17], s[14:15], 0, v[6:7]
	global_load_dword v17, v[16:17], off
	v_lshl_add_u64 v[6:7], s[16:17], 0, v[6:7]
	global_load_dword v16, v[6:7], off
	s_waitcnt vmcnt(1)
	v_subrev_u32_e32 v7, s7, v17
.LBB0_11:                               ;   in Loop: Header=BB0_9 Depth=1
	s_or_b64 exec, exec, s[18:19]
	ds_write_b32 v13, v7
	s_waitcnt vmcnt(0)
	ds_write_b32 v15, v16
	s_waitcnt lgkmcnt(0)
	s_barrier
	s_and_saveexec_b64 s[2:3], vcc
	s_cbranch_execz .LBB0_8
; %bb.12:                               ;   in Loop: Header=BB0_9 Depth=1
	ds_read_b128 v[16:19], v12
	ds_read_b128 v[20:23], v12 offset:16
	s_waitcnt lgkmcnt(1)
	v_ashrrev_i32_e32 v7, 31, v16
	v_mov_b32_e32 v6, v16
	v_ashrrev_i32_e32 v25, 31, v17
	v_mov_b32_e32 v24, v17
	;; [unrolled: 2-line block ×3, first 2 shown]
	s_waitcnt lgkmcnt(0)
	v_ashrrev_i32_e32 v29, 31, v21
	v_mov_b32_e32 v28, v21
	v_lshl_add_u64 v[6:7], v[6:7], 2, v[0:1]
	v_lshl_add_u64 v[16:17], v[24:25], 2, v[0:1]
	v_ashrrev_i32_e32 v25, 31, v18
	v_mov_b32_e32 v24, v18
	v_lshl_add_u64 v[18:19], v[26:27], 2, v[0:1]
	v_ashrrev_i32_e32 v27, 31, v20
	v_mov_b32_e32 v26, v20
	v_lshl_add_u64 v[20:21], v[28:29], 2, v[0:1]
	v_ashrrev_i32_e32 v29, 31, v22
	v_mov_b32_e32 v28, v22
	v_ashrrev_i32_e32 v31, 31, v23
	v_mov_b32_e32 v30, v23
	v_lshl_add_u64 v[24:25], v[24:25], 2, v[0:1]
	v_lshl_add_u64 v[26:27], v[26:27], 2, v[0:1]
	;; [unrolled: 1-line block ×4, first 2 shown]
	global_load_dword v30, v[6:7], off
	global_load_dword v31, v[16:17], off
	;; [unrolled: 1-line block ×8, first 2 shown]
	ds_read_b128 v[16:19], v14
	ds_read_b128 v[20:23], v14 offset:16
	s_waitcnt vmcnt(7) lgkmcnt(1)
	v_fmac_f32_e32 v10, v16, v30
	s_waitcnt vmcnt(6)
	v_fmac_f32_e32 v10, v17, v31
	s_waitcnt vmcnt(5)
	;; [unrolled: 2-line block ×3, first 2 shown]
	v_fmac_f32_e32 v10, v19, v33
	s_waitcnt vmcnt(3) lgkmcnt(0)
	v_fmac_f32_e32 v10, v20, v34
	s_waitcnt vmcnt(2)
	v_fmac_f32_e32 v10, v21, v35
	s_waitcnt vmcnt(1)
	;; [unrolled: 2-line block ×3, first 2 shown]
	v_fmac_f32_e32 v10, v23, v37
	s_branch .LBB0_8
.LBB0_13:
	s_or_b64 exec, exec, s[12:13]
.LBB0_14:
	s_or_b64 exec, exec, s[8:9]
	v_cmp_gt_i32_e32 vcc, s30, v4
	s_and_b64 exec, exec, vcc
	s_cbranch_execz .LBB0_21
; %bb.15:
	s_load_dwordx4 s[8:11], s[0:1], 0x60
	s_load_dwordx2 s[14:15], s[0:1], 0x70
	v_cmp_neq_f32_e64 s[0:1], s26, 0
	s_waitcnt lgkmcnt(0)
	s_cmp_lg_u32 s6, 1
	s_cselect_b64 s[2:3], -1, 0
	s_and_b64 vcc, exec, s[0:1]
	v_mul_f32_e32 v0, s24, v10
	s_mul_i32 s6, s14, s5
	s_mul_hi_u32 s7, s14, s4
	s_mul_i32 s12, s15, s4
	s_mul_i32 s0, s14, s4
	s_cbranch_vccz .LBB0_22
; %bb.16:
	s_add_i32 s1, s7, s6
	s_add_i32 s1, s1, s12
	s_mov_b64 s[4:5], -1
	s_and_b64 vcc, exec, s[2:3]
	s_cbranch_vccz .LBB0_18
; %bb.17:
	v_mad_u64_u32 v[6:7], s[4:5], s10, v8, 0
	v_mov_b32_e32 v10, v7
	v_mad_u64_u32 v[10:11], s[4:5], s11, v8, v[10:11]
	v_mov_b32_e32 v7, v10
	v_lshl_add_u64 v[6:7], v[6:7], 2, s[8:9]
	v_lshl_add_u64 v[6:7], v[4:5], 2, v[6:7]
	v_lshl_add_u64 v[6:7], s[0:1], 2, v[6:7]
	global_load_dword v1, v[6:7], off
	s_mov_b64 s[4:5], 0
	s_waitcnt vmcnt(0)
	v_fma_f32 v1, s26, v1, v0
	global_store_dword v[6:7], v1, off
.LBB0_18:
	s_andn2_b64 vcc, exec, s[4:5]
	s_cbranch_vccnz .LBB0_20
; %bb.19:
	v_mul_lo_u32 v1, s11, v4
	v_mul_lo_u32 v3, s10, v5
	v_mad_u64_u32 v[6:7], s[4:5], s10, v4, 0
	v_add3_u32 v7, v7, v3, v1
	v_lshl_add_u64 v[6:7], v[6:7], 2, s[8:9]
	v_mov_b32_e32 v3, 0
	v_lshl_add_u64 v[6:7], v[6:7], 0, v[2:3]
	v_lshl_add_u64 v[6:7], s[0:1], 2, v[6:7]
	global_load_dword v1, v[6:7], off
	s_waitcnt vmcnt(0)
	v_fma_f32 v1, s26, v1, v0
	global_store_dword v[6:7], v1, off
.LBB0_20:
	s_cbranch_execz .LBB0_23
.LBB0_21:
	s_endpgm
.LBB0_22:
.LBB0_23:
	s_add_i32 s1, s7, s6
	s_add_i32 s1, s1, s12
	s_mov_b64 s[4:5], -1
	s_and_b64 vcc, exec, s[2:3]
	s_cbranch_vccz .LBB0_25
; %bb.24:
	v_mad_u64_u32 v[6:7], s[2:3], s10, v8, 0
	v_mov_b32_e32 v10, v7
	v_mad_u64_u32 v[8:9], s[2:3], s11, v8, v[10:11]
	v_mov_b32_e32 v7, v8
	v_lshl_add_u64 v[6:7], v[6:7], 2, s[8:9]
	v_lshl_add_u64 v[6:7], v[4:5], 2, v[6:7]
	;; [unrolled: 1-line block ×3, first 2 shown]
	global_store_dword v[6:7], v0, off
	s_mov_b64 s[4:5], 0
.LBB0_25:
	s_andn2_b64 vcc, exec, s[4:5]
	s_cbranch_vccnz .LBB0_21
; %bb.26:
	v_mul_lo_u32 v1, s11, v4
	v_mul_lo_u32 v3, s10, v5
	v_mad_u64_u32 v[4:5], s[2:3], s10, v4, 0
	v_add3_u32 v5, v5, v3, v1
	v_lshl_add_u64 v[4:5], v[4:5], 2, s[8:9]
	v_mov_b32_e32 v3, 0
	v_lshl_add_u64 v[2:3], v[4:5], 0, v[2:3]
	v_lshl_add_u64 v[2:3], s[0:1], 2, v[2:3]
	global_store_dword v[2:3], v0, off
	s_endpgm
	.section	.rodata,"a",@progbits
	.p2align	6, 0x0
	.amdhsa_kernel _ZN9rocsparse31csrmmnn_row_split_shared_kernelILj256ELj8EfiifffEEvNS_24const_host_device_scalarIT1_EES3_bbbT3_S4_llPKT2_PKS4_PKT4_PKT5_llPT6_ll16rocsparse_order_21rocsparse_index_base_
		.amdhsa_group_segment_fixed_size 2048
		.amdhsa_private_segment_fixed_size 0
		.amdhsa_kernarg_size 128
		.amdhsa_user_sgpr_count 2
		.amdhsa_user_sgpr_dispatch_ptr 0
		.amdhsa_user_sgpr_queue_ptr 0
		.amdhsa_user_sgpr_kernarg_segment_ptr 1
		.amdhsa_user_sgpr_dispatch_id 0
		.amdhsa_user_sgpr_kernarg_preload_length 0
		.amdhsa_user_sgpr_kernarg_preload_offset 0
		.amdhsa_user_sgpr_private_segment_size 0
		.amdhsa_uses_dynamic_stack 0
		.amdhsa_enable_private_segment 0
		.amdhsa_system_sgpr_workgroup_id_x 1
		.amdhsa_system_sgpr_workgroup_id_y 1
		.amdhsa_system_sgpr_workgroup_id_z 1
		.amdhsa_system_sgpr_workgroup_info 0
		.amdhsa_system_vgpr_workitem_id 0
		.amdhsa_next_free_vgpr 38
		.amdhsa_next_free_sgpr 32
		.amdhsa_accum_offset 40
		.amdhsa_reserve_vcc 1
		.amdhsa_float_round_mode_32 0
		.amdhsa_float_round_mode_16_64 0
		.amdhsa_float_denorm_mode_32 3
		.amdhsa_float_denorm_mode_16_64 3
		.amdhsa_dx10_clamp 1
		.amdhsa_ieee_mode 1
		.amdhsa_fp16_overflow 0
		.amdhsa_tg_split 0
		.amdhsa_exception_fp_ieee_invalid_op 0
		.amdhsa_exception_fp_denorm_src 0
		.amdhsa_exception_fp_ieee_div_zero 0
		.amdhsa_exception_fp_ieee_overflow 0
		.amdhsa_exception_fp_ieee_underflow 0
		.amdhsa_exception_fp_ieee_inexact 0
		.amdhsa_exception_int_div_zero 0
	.end_amdhsa_kernel
	.section	.text._ZN9rocsparse31csrmmnn_row_split_shared_kernelILj256ELj8EfiifffEEvNS_24const_host_device_scalarIT1_EES3_bbbT3_S4_llPKT2_PKS4_PKT4_PKT5_llPT6_ll16rocsparse_order_21rocsparse_index_base_,"axG",@progbits,_ZN9rocsparse31csrmmnn_row_split_shared_kernelILj256ELj8EfiifffEEvNS_24const_host_device_scalarIT1_EES3_bbbT3_S4_llPKT2_PKS4_PKT4_PKT5_llPT6_ll16rocsparse_order_21rocsparse_index_base_,comdat
.Lfunc_end0:
	.size	_ZN9rocsparse31csrmmnn_row_split_shared_kernelILj256ELj8EfiifffEEvNS_24const_host_device_scalarIT1_EES3_bbbT3_S4_llPKT2_PKS4_PKT4_PKT5_llPT6_ll16rocsparse_order_21rocsparse_index_base_, .Lfunc_end0-_ZN9rocsparse31csrmmnn_row_split_shared_kernelILj256ELj8EfiifffEEvNS_24const_host_device_scalarIT1_EES3_bbbT3_S4_llPKT2_PKS4_PKT4_PKT5_llPT6_ll16rocsparse_order_21rocsparse_index_base_
                                        ; -- End function
	.set _ZN9rocsparse31csrmmnn_row_split_shared_kernelILj256ELj8EfiifffEEvNS_24const_host_device_scalarIT1_EES3_bbbT3_S4_llPKT2_PKS4_PKT4_PKT5_llPT6_ll16rocsparse_order_21rocsparse_index_base_.num_vgpr, 38
	.set _ZN9rocsparse31csrmmnn_row_split_shared_kernelILj256ELj8EfiifffEEvNS_24const_host_device_scalarIT1_EES3_bbbT3_S4_llPKT2_PKS4_PKT4_PKT5_llPT6_ll16rocsparse_order_21rocsparse_index_base_.num_agpr, 0
	.set _ZN9rocsparse31csrmmnn_row_split_shared_kernelILj256ELj8EfiifffEEvNS_24const_host_device_scalarIT1_EES3_bbbT3_S4_llPKT2_PKS4_PKT4_PKT5_llPT6_ll16rocsparse_order_21rocsparse_index_base_.numbered_sgpr, 32
	.set _ZN9rocsparse31csrmmnn_row_split_shared_kernelILj256ELj8EfiifffEEvNS_24const_host_device_scalarIT1_EES3_bbbT3_S4_llPKT2_PKS4_PKT4_PKT5_llPT6_ll16rocsparse_order_21rocsparse_index_base_.num_named_barrier, 0
	.set _ZN9rocsparse31csrmmnn_row_split_shared_kernelILj256ELj8EfiifffEEvNS_24const_host_device_scalarIT1_EES3_bbbT3_S4_llPKT2_PKS4_PKT4_PKT5_llPT6_ll16rocsparse_order_21rocsparse_index_base_.private_seg_size, 0
	.set _ZN9rocsparse31csrmmnn_row_split_shared_kernelILj256ELj8EfiifffEEvNS_24const_host_device_scalarIT1_EES3_bbbT3_S4_llPKT2_PKS4_PKT4_PKT5_llPT6_ll16rocsparse_order_21rocsparse_index_base_.uses_vcc, 1
	.set _ZN9rocsparse31csrmmnn_row_split_shared_kernelILj256ELj8EfiifffEEvNS_24const_host_device_scalarIT1_EES3_bbbT3_S4_llPKT2_PKS4_PKT4_PKT5_llPT6_ll16rocsparse_order_21rocsparse_index_base_.uses_flat_scratch, 0
	.set _ZN9rocsparse31csrmmnn_row_split_shared_kernelILj256ELj8EfiifffEEvNS_24const_host_device_scalarIT1_EES3_bbbT3_S4_llPKT2_PKS4_PKT4_PKT5_llPT6_ll16rocsparse_order_21rocsparse_index_base_.has_dyn_sized_stack, 0
	.set _ZN9rocsparse31csrmmnn_row_split_shared_kernelILj256ELj8EfiifffEEvNS_24const_host_device_scalarIT1_EES3_bbbT3_S4_llPKT2_PKS4_PKT4_PKT5_llPT6_ll16rocsparse_order_21rocsparse_index_base_.has_recursion, 0
	.set _ZN9rocsparse31csrmmnn_row_split_shared_kernelILj256ELj8EfiifffEEvNS_24const_host_device_scalarIT1_EES3_bbbT3_S4_llPKT2_PKS4_PKT4_PKT5_llPT6_ll16rocsparse_order_21rocsparse_index_base_.has_indirect_call, 0
	.section	.AMDGPU.csdata,"",@progbits
; Kernel info:
; codeLenInByte = 1292
; TotalNumSgprs: 38
; NumVgprs: 38
; NumAgprs: 0
; TotalNumVgprs: 38
; ScratchSize: 0
; MemoryBound: 0
; FloatMode: 240
; IeeeMode: 1
; LDSByteSize: 2048 bytes/workgroup (compile time only)
; SGPRBlocks: 4
; VGPRBlocks: 4
; NumSGPRsForWavesPerEU: 38
; NumVGPRsForWavesPerEU: 38
; AccumOffset: 40
; Occupancy: 8
; WaveLimiterHint : 1
; COMPUTE_PGM_RSRC2:SCRATCH_EN: 0
; COMPUTE_PGM_RSRC2:USER_SGPR: 2
; COMPUTE_PGM_RSRC2:TRAP_HANDLER: 0
; COMPUTE_PGM_RSRC2:TGID_X_EN: 1
; COMPUTE_PGM_RSRC2:TGID_Y_EN: 1
; COMPUTE_PGM_RSRC2:TGID_Z_EN: 1
; COMPUTE_PGM_RSRC2:TIDIG_COMP_CNT: 0
; COMPUTE_PGM_RSRC3_GFX90A:ACCUM_OFFSET: 9
; COMPUTE_PGM_RSRC3_GFX90A:TG_SPLIT: 0
	.section	.text._ZN9rocsparse31csrmmnn_row_split_shared_kernelILj256ELj8EflifffEEvNS_24const_host_device_scalarIT1_EES3_bbbT3_S4_llPKT2_PKS4_PKT4_PKT5_llPT6_ll16rocsparse_order_21rocsparse_index_base_,"axG",@progbits,_ZN9rocsparse31csrmmnn_row_split_shared_kernelILj256ELj8EflifffEEvNS_24const_host_device_scalarIT1_EES3_bbbT3_S4_llPKT2_PKS4_PKT4_PKT5_llPT6_ll16rocsparse_order_21rocsparse_index_base_,comdat
	.protected	_ZN9rocsparse31csrmmnn_row_split_shared_kernelILj256ELj8EflifffEEvNS_24const_host_device_scalarIT1_EES3_bbbT3_S4_llPKT2_PKS4_PKT4_PKT5_llPT6_ll16rocsparse_order_21rocsparse_index_base_ ; -- Begin function _ZN9rocsparse31csrmmnn_row_split_shared_kernelILj256ELj8EflifffEEvNS_24const_host_device_scalarIT1_EES3_bbbT3_S4_llPKT2_PKS4_PKT4_PKT5_llPT6_ll16rocsparse_order_21rocsparse_index_base_
	.globl	_ZN9rocsparse31csrmmnn_row_split_shared_kernelILj256ELj8EflifffEEvNS_24const_host_device_scalarIT1_EES3_bbbT3_S4_llPKT2_PKS4_PKT4_PKT5_llPT6_ll16rocsparse_order_21rocsparse_index_base_
	.p2align	8
	.type	_ZN9rocsparse31csrmmnn_row_split_shared_kernelILj256ELj8EflifffEEvNS_24const_host_device_scalarIT1_EES3_bbbT3_S4_llPKT2_PKS4_PKT4_PKT5_llPT6_ll16rocsparse_order_21rocsparse_index_base_,@function
_ZN9rocsparse31csrmmnn_row_split_shared_kernelILj256ELj8EflifffEEvNS_24const_host_device_scalarIT1_EES3_bbbT3_S4_llPKT2_PKS4_PKT4_PKT5_llPT6_ll16rocsparse_order_21rocsparse_index_base_: ; @_ZN9rocsparse31csrmmnn_row_split_shared_kernelILj256ELj8EflifffEEvNS_24const_host_device_scalarIT1_EES3_bbbT3_S4_llPKT2_PKS4_PKT4_PKT5_llPT6_ll16rocsparse_order_21rocsparse_index_base_
; %bb.0:
	s_load_dwordx8 s[24:31], s[0:1], 0x0
	s_waitcnt lgkmcnt(0)
	s_bitcmp1_b32 s28, 0
	s_cselect_b64 s[8:9], -1, 0
	s_xor_b64 s[6:7], s[8:9], -1
	s_and_b64 vcc, exec, s[8:9]
	s_cbranch_vccnz .LBB1_2
; %bb.1:
	s_load_dword s24, s[24:25], 0x0
.LBB1_2:
	s_andn2_b64 vcc, exec, s[6:7]
	s_cbranch_vccnz .LBB1_4
; %bb.3:
	s_load_dword s26, s[26:27], 0x0
.LBB1_4:
	s_waitcnt lgkmcnt(0)
	v_cmp_eq_f32_e64 s[6:7], s24, 0
	v_cmp_eq_f32_e64 s[8:9], s26, 1.0
	s_and_b64 s[6:7], s[6:7], s[8:9]
	s_and_b64 vcc, exec, s[6:7]
	s_cbranch_vccnz .LBB1_21
; %bb.5:
	v_lshl_or_b32 v1, s2, 8, v0
	v_lshrrev_b32_e32 v14, 3, v1
	v_cmp_gt_i32_e32 vcc, s29, v14
	s_and_saveexec_b64 s[6:7], vcc
	s_cbranch_execz .LBB1_21
; %bb.6:
	s_load_dwordx16 s[8:23], s[0:1], 0x20
	s_ashr_i32 s5, s4, 31
	v_lshlrev_b32_e32 v1, 3, v14
	v_and_b32_e32 v8, 7, v0
	v_lshl_or_b32 v6, s3, 3, v8
	s_waitcnt lgkmcnt(0)
	s_mul_hi_u32 s2, s8, s4
	s_mul_i32 s7, s8, s5
	s_mul_i32 s9, s9, s4
	s_add_i32 s2, s2, s7
	s_mul_i32 s6, s8, s4
	s_add_i32 s7, s2, s9
	s_lshl_b64 s[6:7], s[6:7], 3
	s_add_u32 s6, s12, s6
	s_addc_u32 s7, s13, s7
	global_load_dwordx4 v[2:5], v1, s[6:7]
	s_load_dwordx2 s[6:7], s[0:1], 0x78
	v_ashrrev_i32_e32 v7, 31, v6
	v_mov_b32_e32 v15, 0
	s_waitcnt vmcnt(0)
	v_cmp_lt_i64_e32 vcc, v[2:3], v[4:5]
	s_and_saveexec_b64 s[8:9], vcc
	s_cbranch_execz .LBB1_14
; %bb.7:
	v_mad_u64_u32 v[20:21], s[2:3], s20, v6, 0
	v_lshlrev_b32_e32 v0, 2, v0
	v_mul_lo_u32 v1, s21, v6
	v_mul_lo_u32 v9, s20, v7
	v_and_b32_e32 v16, 0x3e0, v0
	s_mul_i32 s2, s22, s5
	s_mul_hi_u32 s3, s22, s4
	s_waitcnt lgkmcnt(0)
	v_subrev_co_u32_e32 v4, vcc, s7, v4
	v_mov_b32_e32 v12, s18
	v_mov_b32_e32 v13, s19
	v_add3_u32 v21, v21, v9, v1
	v_lshlrev_b32_e32 v0, 2, v8
	v_or_b32_e32 v18, 0x400, v16
	s_add_i32 s2, s3, s2
	s_mul_i32 s3, s23, s4
	v_subbrev_co_u32_e32 v5, vcc, 0, v5, vcc
	v_or_b32_e32 v17, v16, v0
	v_or_b32_e32 v19, v18, v0
	s_add_i32 s3, s2, s3
	s_mul_i32 s2, s22, s4
	v_lshl_add_u64 v[0:1], v[20:21], 2, v[12:13]
	v_subrev_co_u32_e32 v10, vcc, s7, v2
	v_lshl_add_u64 v[0:1], s[2:3], 2, v[0:1]
	s_mul_i32 s2, s11, s4
	s_mul_i32 s3, s10, s5
	v_mov_b32_e32 v12, s4
	v_subbrev_co_u32_e32 v11, vcc, 0, v3, vcc
	s_add_i32 s11, s3, s2
	v_mad_u64_u32 v[2:3], s[2:3], s10, v12, v[2:3]
	v_mov_b32_e32 v9, 0
	v_add_u32_e32 v3, s11, v3
	v_lshl_add_u64 v[2:3], v[2:3], 0, v[8:9]
	v_subrev_co_u32_e64 v2, s[2:3], s7, v2
	v_cmp_gt_i32_e32 vcc, s30, v6
	s_nop 0
	v_subbrev_co_u32_e64 v3, s[2:3], 0, v3, s[2:3]
	v_lshlrev_b64 v[12:13], 2, v[2:3]
	v_lshl_add_u64 v[2:3], s[14:15], 0, v[12:13]
	v_lshl_add_u64 v[12:13], s[16:17], 0, v[12:13]
	s_mov_b64 s[10:11], 0
	v_mov_b32_e32 v15, v9
	s_branch .LBB1_9
.LBB1_8:                                ;   in Loop: Header=BB1_9 Depth=1
	s_or_b64 exec, exec, s[2:3]
	v_lshl_add_u64 v[10:11], v[10:11], 0, 8
	v_cmp_ge_i64_e64 s[2:3], v[10:11], v[4:5]
	v_lshl_add_u64 v[2:3], v[2:3], 0, 32
	s_or_b64 s[10:11], s[2:3], s[10:11]
	v_lshl_add_u64 v[12:13], v[12:13], 0, 32
	s_andn2_b64 exec, exec, s[10:11]
	s_cbranch_execz .LBB1_13
.LBB1_9:                                ; =>This Inner Loop Header: Depth=1
	v_lshl_add_u64 v[20:21], v[8:9], 0, v[10:11]
	v_cmp_lt_i64_e64 s[2:3], v[20:21], v[4:5]
	v_mov_b32_e32 v20, 0
	v_mov_b32_e32 v21, 0
	s_barrier
	s_and_saveexec_b64 s[12:13], s[2:3]
	s_cbranch_execz .LBB1_11
; %bb.10:                               ;   in Loop: Header=BB1_9 Depth=1
	global_load_dword v20, v[2:3], off
	global_load_dword v21, v[12:13], off
	s_waitcnt vmcnt(1)
	v_subrev_u32_e32 v20, s7, v20
.LBB1_11:                               ;   in Loop: Header=BB1_9 Depth=1
	s_or_b64 exec, exec, s[12:13]
	ds_write_b32 v17, v20
	s_waitcnt vmcnt(0)
	ds_write_b32 v19, v21
	s_waitcnt lgkmcnt(0)
	s_barrier
	s_and_saveexec_b64 s[2:3], vcc
	s_cbranch_execz .LBB1_8
; %bb.12:                               ;   in Loop: Header=BB1_9 Depth=1
	ds_read_b128 v[20:23], v16
	ds_read_b128 v[24:27], v16 offset:16
	s_waitcnt lgkmcnt(1)
	v_ashrrev_i32_e32 v29, 31, v20
	v_mov_b32_e32 v28, v20
	v_ashrrev_i32_e32 v31, 31, v21
	v_mov_b32_e32 v30, v21
	v_ashrrev_i32_e32 v33, 31, v23
	v_mov_b32_e32 v32, v23
	s_waitcnt lgkmcnt(0)
	v_ashrrev_i32_e32 v35, 31, v25
	v_mov_b32_e32 v34, v25
	v_lshl_add_u64 v[20:21], v[28:29], 2, v[0:1]
	v_lshl_add_u64 v[28:29], v[30:31], 2, v[0:1]
	v_ashrrev_i32_e32 v31, 31, v22
	v_mov_b32_e32 v30, v22
	v_lshl_add_u64 v[22:23], v[32:33], 2, v[0:1]
	v_ashrrev_i32_e32 v33, 31, v24
	v_mov_b32_e32 v32, v24
	v_lshl_add_u64 v[24:25], v[34:35], 2, v[0:1]
	v_ashrrev_i32_e32 v35, 31, v26
	v_mov_b32_e32 v34, v26
	v_ashrrev_i32_e32 v37, 31, v27
	v_mov_b32_e32 v36, v27
	v_lshl_add_u64 v[30:31], v[30:31], 2, v[0:1]
	v_lshl_add_u64 v[32:33], v[32:33], 2, v[0:1]
	;; [unrolled: 1-line block ×4, first 2 shown]
	global_load_dword v36, v[20:21], off
	global_load_dword v37, v[28:29], off
	;; [unrolled: 1-line block ×8, first 2 shown]
	ds_read_b128 v[20:23], v18
	ds_read_b128 v[24:27], v18 offset:16
	s_waitcnt vmcnt(7) lgkmcnt(1)
	v_fmac_f32_e32 v15, v20, v36
	s_waitcnt vmcnt(6)
	v_fmac_f32_e32 v15, v21, v37
	s_waitcnt vmcnt(5)
	;; [unrolled: 2-line block ×3, first 2 shown]
	v_fmac_f32_e32 v15, v23, v39
	s_waitcnt vmcnt(3) lgkmcnt(0)
	v_fmac_f32_e32 v15, v24, v40
	s_waitcnt vmcnt(2)
	v_fmac_f32_e32 v15, v25, v41
	s_waitcnt vmcnt(1)
	;; [unrolled: 2-line block ×3, first 2 shown]
	v_fmac_f32_e32 v15, v27, v43
	s_branch .LBB1_8
.LBB1_13:
	s_or_b64 exec, exec, s[10:11]
.LBB1_14:
	s_or_b64 exec, exec, s[8:9]
	v_cmp_gt_i32_e32 vcc, s30, v6
	s_and_b64 exec, exec, vcc
	s_cbranch_execz .LBB1_21
; %bb.15:
	s_load_dwordx4 s[8:11], s[0:1], 0x60
	s_load_dwordx2 s[14:15], s[0:1], 0x70
	v_cmp_neq_f32_e64 s[0:1], s26, 0
	s_waitcnt lgkmcnt(0)
	s_cmp_lg_u32 s6, 1
	s_cselect_b64 s[2:3], -1, 0
	s_and_b64 vcc, exec, s[0:1]
	v_mul_f32_e32 v0, s24, v15
	s_mul_i32 s6, s14, s5
	s_mul_hi_u32 s7, s14, s4
	s_mul_i32 s12, s15, s4
	s_mul_i32 s0, s14, s4
	s_cbranch_vccz .LBB1_22
; %bb.16:
	s_add_i32 s1, s7, s6
	s_add_i32 s1, s1, s12
	s_mov_b64 s[4:5], -1
	s_and_b64 vcc, exec, s[2:3]
	s_cbranch_vccz .LBB1_18
; %bb.17:
	v_mad_u64_u32 v[2:3], s[4:5], s10, v14, 0
	v_mov_b32_e32 v4, v3
	v_mad_u64_u32 v[4:5], s[4:5], s11, v14, v[4:5]
	v_mov_b32_e32 v3, v4
	v_lshl_add_u64 v[2:3], v[2:3], 2, s[8:9]
	v_lshl_add_u64 v[2:3], v[6:7], 2, v[2:3]
	v_lshl_add_u64 v[2:3], s[0:1], 2, v[2:3]
	global_load_dword v1, v[2:3], off
	s_mov_b64 s[4:5], 0
	s_waitcnt vmcnt(0)
	v_fma_f32 v1, s26, v1, v0
	global_store_dword v[2:3], v1, off
.LBB1_18:
	s_andn2_b64 vcc, exec, s[4:5]
	s_cbranch_vccnz .LBB1_20
; %bb.19:
	v_mul_lo_u32 v1, s11, v6
	v_mul_lo_u32 v4, s10, v7
	v_mad_u64_u32 v[2:3], s[4:5], s10, v6, 0
	v_add3_u32 v3, v3, v4, v1
	v_lshl_add_u64 v[2:3], v[2:3], 2, s[8:9]
	v_lshlrev_b32_e32 v4, 2, v14
	v_mov_b32_e32 v5, 0
	v_lshl_add_u64 v[2:3], v[2:3], 0, v[4:5]
	v_lshl_add_u64 v[2:3], s[0:1], 2, v[2:3]
	global_load_dword v1, v[2:3], off
	s_waitcnt vmcnt(0)
	v_fma_f32 v1, s26, v1, v0
	global_store_dword v[2:3], v1, off
.LBB1_20:
	s_cbranch_execz .LBB1_23
.LBB1_21:
	s_endpgm
.LBB1_22:
.LBB1_23:
	s_add_i32 s1, s7, s6
	s_add_i32 s1, s1, s12
	s_mov_b64 s[4:5], -1
	s_and_b64 vcc, exec, s[2:3]
	s_cbranch_vccz .LBB1_25
; %bb.24:
	v_mad_u64_u32 v[2:3], s[2:3], s10, v14, 0
	v_mov_b32_e32 v4, v3
	v_mad_u64_u32 v[4:5], s[2:3], s11, v14, v[4:5]
	v_mov_b32_e32 v3, v4
	v_lshl_add_u64 v[2:3], v[2:3], 2, s[8:9]
	v_lshl_add_u64 v[2:3], v[6:7], 2, v[2:3]
	;; [unrolled: 1-line block ×3, first 2 shown]
	global_store_dword v[2:3], v0, off
	s_mov_b64 s[4:5], 0
.LBB1_25:
	s_andn2_b64 vcc, exec, s[4:5]
	s_cbranch_vccnz .LBB1_21
; %bb.26:
	v_mul_lo_u32 v1, s11, v6
	v_mul_lo_u32 v4, s10, v7
	v_mad_u64_u32 v[2:3], s[2:3], s10, v6, 0
	v_add3_u32 v3, v3, v4, v1
	v_lshl_add_u64 v[2:3], v[2:3], 2, s[8:9]
	v_lshlrev_b32_e32 v4, 2, v14
	v_mov_b32_e32 v5, 0
	v_lshl_add_u64 v[2:3], v[2:3], 0, v[4:5]
	v_lshl_add_u64 v[2:3], s[0:1], 2, v[2:3]
	global_store_dword v[2:3], v0, off
	s_endpgm
	.section	.rodata,"a",@progbits
	.p2align	6, 0x0
	.amdhsa_kernel _ZN9rocsparse31csrmmnn_row_split_shared_kernelILj256ELj8EflifffEEvNS_24const_host_device_scalarIT1_EES3_bbbT3_S4_llPKT2_PKS4_PKT4_PKT5_llPT6_ll16rocsparse_order_21rocsparse_index_base_
		.amdhsa_group_segment_fixed_size 2048
		.amdhsa_private_segment_fixed_size 0
		.amdhsa_kernarg_size 128
		.amdhsa_user_sgpr_count 2
		.amdhsa_user_sgpr_dispatch_ptr 0
		.amdhsa_user_sgpr_queue_ptr 0
		.amdhsa_user_sgpr_kernarg_segment_ptr 1
		.amdhsa_user_sgpr_dispatch_id 0
		.amdhsa_user_sgpr_kernarg_preload_length 0
		.amdhsa_user_sgpr_kernarg_preload_offset 0
		.amdhsa_user_sgpr_private_segment_size 0
		.amdhsa_uses_dynamic_stack 0
		.amdhsa_enable_private_segment 0
		.amdhsa_system_sgpr_workgroup_id_x 1
		.amdhsa_system_sgpr_workgroup_id_y 1
		.amdhsa_system_sgpr_workgroup_id_z 1
		.amdhsa_system_sgpr_workgroup_info 0
		.amdhsa_system_vgpr_workitem_id 0
		.amdhsa_next_free_vgpr 44
		.amdhsa_next_free_sgpr 32
		.amdhsa_accum_offset 44
		.amdhsa_reserve_vcc 1
		.amdhsa_float_round_mode_32 0
		.amdhsa_float_round_mode_16_64 0
		.amdhsa_float_denorm_mode_32 3
		.amdhsa_float_denorm_mode_16_64 3
		.amdhsa_dx10_clamp 1
		.amdhsa_ieee_mode 1
		.amdhsa_fp16_overflow 0
		.amdhsa_tg_split 0
		.amdhsa_exception_fp_ieee_invalid_op 0
		.amdhsa_exception_fp_denorm_src 0
		.amdhsa_exception_fp_ieee_div_zero 0
		.amdhsa_exception_fp_ieee_overflow 0
		.amdhsa_exception_fp_ieee_underflow 0
		.amdhsa_exception_fp_ieee_inexact 0
		.amdhsa_exception_int_div_zero 0
	.end_amdhsa_kernel
	.section	.text._ZN9rocsparse31csrmmnn_row_split_shared_kernelILj256ELj8EflifffEEvNS_24const_host_device_scalarIT1_EES3_bbbT3_S4_llPKT2_PKS4_PKT4_PKT5_llPT6_ll16rocsparse_order_21rocsparse_index_base_,"axG",@progbits,_ZN9rocsparse31csrmmnn_row_split_shared_kernelILj256ELj8EflifffEEvNS_24const_host_device_scalarIT1_EES3_bbbT3_S4_llPKT2_PKS4_PKT4_PKT5_llPT6_ll16rocsparse_order_21rocsparse_index_base_,comdat
.Lfunc_end1:
	.size	_ZN9rocsparse31csrmmnn_row_split_shared_kernelILj256ELj8EflifffEEvNS_24const_host_device_scalarIT1_EES3_bbbT3_S4_llPKT2_PKS4_PKT4_PKT5_llPT6_ll16rocsparse_order_21rocsparse_index_base_, .Lfunc_end1-_ZN9rocsparse31csrmmnn_row_split_shared_kernelILj256ELj8EflifffEEvNS_24const_host_device_scalarIT1_EES3_bbbT3_S4_llPKT2_PKS4_PKT4_PKT5_llPT6_ll16rocsparse_order_21rocsparse_index_base_
                                        ; -- End function
	.set _ZN9rocsparse31csrmmnn_row_split_shared_kernelILj256ELj8EflifffEEvNS_24const_host_device_scalarIT1_EES3_bbbT3_S4_llPKT2_PKS4_PKT4_PKT5_llPT6_ll16rocsparse_order_21rocsparse_index_base_.num_vgpr, 44
	.set _ZN9rocsparse31csrmmnn_row_split_shared_kernelILj256ELj8EflifffEEvNS_24const_host_device_scalarIT1_EES3_bbbT3_S4_llPKT2_PKS4_PKT4_PKT5_llPT6_ll16rocsparse_order_21rocsparse_index_base_.num_agpr, 0
	.set _ZN9rocsparse31csrmmnn_row_split_shared_kernelILj256ELj8EflifffEEvNS_24const_host_device_scalarIT1_EES3_bbbT3_S4_llPKT2_PKS4_PKT4_PKT5_llPT6_ll16rocsparse_order_21rocsparse_index_base_.numbered_sgpr, 32
	.set _ZN9rocsparse31csrmmnn_row_split_shared_kernelILj256ELj8EflifffEEvNS_24const_host_device_scalarIT1_EES3_bbbT3_S4_llPKT2_PKS4_PKT4_PKT5_llPT6_ll16rocsparse_order_21rocsparse_index_base_.num_named_barrier, 0
	.set _ZN9rocsparse31csrmmnn_row_split_shared_kernelILj256ELj8EflifffEEvNS_24const_host_device_scalarIT1_EES3_bbbT3_S4_llPKT2_PKS4_PKT4_PKT5_llPT6_ll16rocsparse_order_21rocsparse_index_base_.private_seg_size, 0
	.set _ZN9rocsparse31csrmmnn_row_split_shared_kernelILj256ELj8EflifffEEvNS_24const_host_device_scalarIT1_EES3_bbbT3_S4_llPKT2_PKS4_PKT4_PKT5_llPT6_ll16rocsparse_order_21rocsparse_index_base_.uses_vcc, 1
	.set _ZN9rocsparse31csrmmnn_row_split_shared_kernelILj256ELj8EflifffEEvNS_24const_host_device_scalarIT1_EES3_bbbT3_S4_llPKT2_PKS4_PKT4_PKT5_llPT6_ll16rocsparse_order_21rocsparse_index_base_.uses_flat_scratch, 0
	.set _ZN9rocsparse31csrmmnn_row_split_shared_kernelILj256ELj8EflifffEEvNS_24const_host_device_scalarIT1_EES3_bbbT3_S4_llPKT2_PKS4_PKT4_PKT5_llPT6_ll16rocsparse_order_21rocsparse_index_base_.has_dyn_sized_stack, 0
	.set _ZN9rocsparse31csrmmnn_row_split_shared_kernelILj256ELj8EflifffEEvNS_24const_host_device_scalarIT1_EES3_bbbT3_S4_llPKT2_PKS4_PKT4_PKT5_llPT6_ll16rocsparse_order_21rocsparse_index_base_.has_recursion, 0
	.set _ZN9rocsparse31csrmmnn_row_split_shared_kernelILj256ELj8EflifffEEvNS_24const_host_device_scalarIT1_EES3_bbbT3_S4_llPKT2_PKS4_PKT4_PKT5_llPT6_ll16rocsparse_order_21rocsparse_index_base_.has_indirect_call, 0
	.section	.AMDGPU.csdata,"",@progbits
; Kernel info:
; codeLenInByte = 1356
; TotalNumSgprs: 38
; NumVgprs: 44
; NumAgprs: 0
; TotalNumVgprs: 44
; ScratchSize: 0
; MemoryBound: 0
; FloatMode: 240
; IeeeMode: 1
; LDSByteSize: 2048 bytes/workgroup (compile time only)
; SGPRBlocks: 4
; VGPRBlocks: 5
; NumSGPRsForWavesPerEU: 38
; NumVGPRsForWavesPerEU: 44
; AccumOffset: 44
; Occupancy: 8
; WaveLimiterHint : 1
; COMPUTE_PGM_RSRC2:SCRATCH_EN: 0
; COMPUTE_PGM_RSRC2:USER_SGPR: 2
; COMPUTE_PGM_RSRC2:TRAP_HANDLER: 0
; COMPUTE_PGM_RSRC2:TGID_X_EN: 1
; COMPUTE_PGM_RSRC2:TGID_Y_EN: 1
; COMPUTE_PGM_RSRC2:TGID_Z_EN: 1
; COMPUTE_PGM_RSRC2:TIDIG_COMP_CNT: 0
; COMPUTE_PGM_RSRC3_GFX90A:ACCUM_OFFSET: 10
; COMPUTE_PGM_RSRC3_GFX90A:TG_SPLIT: 0
	.section	.text._ZN9rocsparse31csrmmnn_row_split_shared_kernelILj256ELj8EfllfffEEvNS_24const_host_device_scalarIT1_EES3_bbbT3_S4_llPKT2_PKS4_PKT4_PKT5_llPT6_ll16rocsparse_order_21rocsparse_index_base_,"axG",@progbits,_ZN9rocsparse31csrmmnn_row_split_shared_kernelILj256ELj8EfllfffEEvNS_24const_host_device_scalarIT1_EES3_bbbT3_S4_llPKT2_PKS4_PKT4_PKT5_llPT6_ll16rocsparse_order_21rocsparse_index_base_,comdat
	.protected	_ZN9rocsparse31csrmmnn_row_split_shared_kernelILj256ELj8EfllfffEEvNS_24const_host_device_scalarIT1_EES3_bbbT3_S4_llPKT2_PKS4_PKT4_PKT5_llPT6_ll16rocsparse_order_21rocsparse_index_base_ ; -- Begin function _ZN9rocsparse31csrmmnn_row_split_shared_kernelILj256ELj8EfllfffEEvNS_24const_host_device_scalarIT1_EES3_bbbT3_S4_llPKT2_PKS4_PKT4_PKT5_llPT6_ll16rocsparse_order_21rocsparse_index_base_
	.globl	_ZN9rocsparse31csrmmnn_row_split_shared_kernelILj256ELj8EfllfffEEvNS_24const_host_device_scalarIT1_EES3_bbbT3_S4_llPKT2_PKS4_PKT4_PKT5_llPT6_ll16rocsparse_order_21rocsparse_index_base_
	.p2align	8
	.type	_ZN9rocsparse31csrmmnn_row_split_shared_kernelILj256ELj8EfllfffEEvNS_24const_host_device_scalarIT1_EES3_bbbT3_S4_llPKT2_PKS4_PKT4_PKT5_llPT6_ll16rocsparse_order_21rocsparse_index_base_,@function
_ZN9rocsparse31csrmmnn_row_split_shared_kernelILj256ELj8EfllfffEEvNS_24const_host_device_scalarIT1_EES3_bbbT3_S4_llPKT2_PKS4_PKT4_PKT5_llPT6_ll16rocsparse_order_21rocsparse_index_base_: ; @_ZN9rocsparse31csrmmnn_row_split_shared_kernelILj256ELj8EfllfffEEvNS_24const_host_device_scalarIT1_EES3_bbbT3_S4_llPKT2_PKS4_PKT4_PKT5_llPT6_ll16rocsparse_order_21rocsparse_index_base_
; %bb.0:
	s_load_dword s5, s[0:1], 0x10
	s_load_dwordx4 s[36:39], s[0:1], 0x0
	s_waitcnt lgkmcnt(0)
	s_bitcmp1_b32 s5, 0
	s_cselect_b64 s[8:9], -1, 0
	s_xor_b64 s[6:7], s[8:9], -1
	s_and_b64 vcc, exec, s[8:9]
	s_cbranch_vccnz .LBB2_2
; %bb.1:
	s_load_dword s36, s[36:37], 0x0
.LBB2_2:
	s_andn2_b64 vcc, exec, s[6:7]
	s_cbranch_vccnz .LBB2_4
; %bb.3:
	s_load_dword s38, s[38:39], 0x0
.LBB2_4:
	s_waitcnt lgkmcnt(0)
	v_cmp_eq_f32_e64 s[6:7], s36, 0
	v_cmp_eq_f32_e64 s[8:9], s38, 1.0
	s_and_b64 s[6:7], s[6:7], s[8:9]
	s_and_b64 vcc, exec, s[6:7]
	s_cbranch_vccnz .LBB2_21
; %bb.5:
	s_load_dwordx16 s[8:23], s[0:1], 0x18
	v_lshl_or_b32 v1, s2, 8, v0
	v_lshrrev_b32_e32 v6, 3, v1
	v_mov_b32_e32 v7, 0
	s_waitcnt lgkmcnt(0)
	v_cmp_gt_i64_e32 vcc, s[8:9], v[6:7]
	s_and_saveexec_b64 s[6:7], vcc
	s_cbranch_execz .LBB2_21
; %bb.6:
	s_mul_i32 s2, s13, s4
	s_mul_hi_u32 s5, s12, s4
	s_add_i32 s7, s5, s2
	s_mul_i32 s6, s12, s4
	s_lshl_b64 s[6:7], s[6:7], 3
	s_add_u32 s6, s16, s6
	s_addc_u32 s7, s17, s7
	v_lshlrev_b32_e32 v1, 3, v6
	global_load_dwordx4 v[2:5], v1, s[6:7]
	s_load_dwordx8 s[24:31], s[0:1], 0x58
	s_load_dwordx4 s[40:43], s[0:1], 0x78
	v_and_b32_e32 v10, 7, v0
	v_lshl_or_b32 v8, s3, 3, v10
	v_mov_b32_e32 v9, v7
	s_waitcnt vmcnt(0)
	v_cmp_lt_i64_e32 vcc, v[2:3], v[4:5]
	s_and_saveexec_b64 s[2:3], vcc
	s_cbranch_execz .LBB2_14
; %bb.7:
	s_waitcnt lgkmcnt(0)
	v_mad_u64_u32 v[22:23], s[0:1], s24, v8, 0
	v_mov_b32_e32 v18, v23
	v_subrev_co_u32_e32 v4, vcc, s43, v4
	v_mad_u64_u32 v[18:19], s[0:1], s25, v8, v[18:19]
	s_nop 0
	v_subbrev_co_u32_e32 v5, vcc, 0, v5, vcc
	v_lshrrev_b32_e32 v7, 3, v0
	v_mov_b32_e32 v12, s22
	v_mov_b32_e32 v13, s23
	;; [unrolled: 1-line block ×4, first 2 shown]
	s_mul_i32 s0, s27, s4
	s_mul_hi_u32 s1, s26, s4
	v_subrev_co_u32_e32 v0, vcc, s43, v2
	v_lshlrev_b32_e32 v18, 6, v7
	v_lshl_or_b32 v20, v7, 5, v20
	s_add_i32 s1, s1, s0
	s_mul_i32 s0, s26, s4
	v_lshl_add_u64 v[12:13], v[22:23], 2, v[12:13]
	v_mov_b32_e32 v7, s4
	v_subbrev_co_u32_e32 v1, vcc, 0, v3, vcc
	v_lshl_add_u64 v[12:13], s[0:1], 2, v[12:13]
	v_mad_u64_u32 v[2:3], s[0:1], s14, v7, v[2:3]
	s_mul_i32 s0, s15, s4
	v_mov_b32_e32 v11, 0
	v_add_u32_e32 v3, s0, v3
	v_lshl_add_u64 v[2:3], v[2:3], 0, v[10:11]
	v_subrev_co_u32_e64 v22, s[0:1], s43, v2
	v_mov_b32_e32 v14, s18
	v_mov_b32_e32 v15, s19
	;; [unrolled: 1-line block ×4, first 2 shown]
	v_subbrev_co_u32_e64 v23, s[0:1], 0, v3, s[0:1]
	s_mov_b32 s5, s43
	v_lshl_or_b32 v19, v10, 3, v18
	v_lshl_or_b32 v21, v10, 2, v20
	v_cmp_gt_i64_e32 vcc, s[10:11], v[8:9]
	v_lshl_add_u64 v[2:3], v[22:23], 3, v[14:15]
	v_lshl_add_u64 v[14:15], v[22:23], 2, v[16:17]
	s_mov_b64 s[6:7], 0
	v_mov_b32_e32 v7, v11
	s_branch .LBB2_9
.LBB2_8:                                ;   in Loop: Header=BB2_9 Depth=1
	s_or_b64 exec, exec, s[0:1]
	v_lshl_add_u64 v[0:1], v[0:1], 0, 8
	v_cmp_ge_i64_e64 s[0:1], v[0:1], v[4:5]
	v_lshl_add_u64 v[2:3], v[2:3], 0, 64
	s_or_b64 s[6:7], s[0:1], s[6:7]
	v_lshl_add_u64 v[14:15], v[14:15], 0, 32
	s_andn2_b64 exec, exec, s[6:7]
	s_cbranch_execz .LBB2_13
.LBB2_9:                                ; =>This Inner Loop Header: Depth=1
	v_lshl_add_u64 v[16:17], v[10:11], 0, v[0:1]
	v_cmp_lt_i64_e64 s[0:1], v[16:17], v[4:5]
	v_mov_b64_e32 v[16:17], 0
	v_mov_b32_e32 v22, 0
	s_barrier
	s_and_saveexec_b64 s[8:9], s[0:1]
	s_cbranch_execz .LBB2_11
; %bb.10:                               ;   in Loop: Header=BB2_9 Depth=1
	global_load_dwordx2 v[16:17], v[2:3], off
	global_load_dword v22, v[14:15], off
	s_waitcnt vmcnt(1)
	v_subrev_co_u32_e64 v16, s[0:1], s5, v16
	s_nop 1
	v_subbrev_co_u32_e64 v17, s[0:1], 0, v17, s[0:1]
.LBB2_11:                               ;   in Loop: Header=BB2_9 Depth=1
	s_or_b64 exec, exec, s[8:9]
	ds_write_b64 v19, v[16:17]
	s_waitcnt vmcnt(0)
	ds_write_b32 v21, v22
	s_waitcnt lgkmcnt(0)
	s_barrier
	s_and_saveexec_b64 s[0:1], vcc
	s_cbranch_execz .LBB2_8
; %bb.12:                               ;   in Loop: Header=BB2_9 Depth=1
	ds_read_b128 v[22:25], v18
	ds_read_b128 v[26:29], v18 offset:16
	ds_read_b128 v[30:33], v18 offset:32
	ds_read_b128 v[34:37], v18 offset:48
	s_waitcnt lgkmcnt(3)
	v_lshl_add_u64 v[16:17], v[22:23], 2, v[12:13]
	v_lshl_add_u64 v[22:23], v[24:25], 2, v[12:13]
	s_waitcnt lgkmcnt(2)
	v_lshl_add_u64 v[24:25], v[26:27], 2, v[12:13]
	v_lshl_add_u64 v[26:27], v[28:29], 2, v[12:13]
	s_waitcnt lgkmcnt(1)
	v_lshl_add_u64 v[28:29], v[30:31], 2, v[12:13]
	v_lshl_add_u64 v[30:31], v[32:33], 2, v[12:13]
	s_waitcnt lgkmcnt(0)
	v_lshl_add_u64 v[32:33], v[34:35], 2, v[12:13]
	v_lshl_add_u64 v[34:35], v[36:37], 2, v[12:13]
	global_load_dword v36, v[16:17], off
	global_load_dword v37, v[22:23], off
	;; [unrolled: 1-line block ×8, first 2 shown]
	ds_read_b128 v[22:25], v20
	ds_read_b128 v[26:29], v20 offset:16
	s_waitcnt vmcnt(7) lgkmcnt(1)
	v_fmac_f32_e32 v7, v22, v36
	s_waitcnt vmcnt(6)
	v_fmac_f32_e32 v7, v23, v37
	s_waitcnt vmcnt(5)
	;; [unrolled: 2-line block ×3, first 2 shown]
	v_fmac_f32_e32 v7, v25, v39
	s_waitcnt vmcnt(3) lgkmcnt(0)
	v_fmac_f32_e32 v7, v26, v40
	s_waitcnt vmcnt(2)
	v_fmac_f32_e32 v7, v27, v41
	s_waitcnt vmcnt(1)
	;; [unrolled: 2-line block ×3, first 2 shown]
	v_fmac_f32_e32 v7, v29, v43
	s_branch .LBB2_8
.LBB2_13:
	s_or_b64 exec, exec, s[6:7]
.LBB2_14:
	s_or_b64 exec, exec, s[2:3]
	v_cmp_gt_i64_e32 vcc, s[10:11], v[8:9]
	s_and_b64 exec, exec, vcc
	s_cbranch_execz .LBB2_21
; %bb.15:
	v_cmp_neq_f32_e64 s[0:1], s38, 0
	s_waitcnt lgkmcnt(0)
	s_cmp_lg_u32 s42, 1
	s_cselect_b64 s[2:3], -1, 0
	s_and_b64 vcc, exec, s[0:1]
	v_mul_f32_e32 v0, s36, v7
	s_mul_i32 s6, s41, s4
	s_mul_hi_u32 s7, s40, s4
	s_mul_i32 s0, s40, s4
	s_cbranch_vccz .LBB2_22
; %bb.16:
	s_add_i32 s1, s7, s6
	s_mov_b64 s[4:5], -1
	s_and_b64 vcc, exec, s[2:3]
	s_cbranch_vccz .LBB2_18
; %bb.17:
	v_mad_u64_u32 v[2:3], s[4:5], s30, v6, 0
	v_mov_b32_e32 v4, v3
	v_mad_u64_u32 v[4:5], s[4:5], s31, v6, v[4:5]
	v_mov_b32_e32 v3, v4
	v_lshl_add_u64 v[2:3], v[2:3], 2, s[28:29]
	v_lshl_add_u64 v[2:3], v[8:9], 2, v[2:3]
	;; [unrolled: 1-line block ×3, first 2 shown]
	global_load_dword v1, v[2:3], off
	s_mov_b64 s[4:5], 0
	s_waitcnt vmcnt(0)
	v_fma_f32 v1, s38, v1, v0
	global_store_dword v[2:3], v1, off
.LBB2_18:
	s_andn2_b64 vcc, exec, s[4:5]
	s_cbranch_vccnz .LBB2_20
; %bb.19:
	v_mad_u64_u32 v[2:3], s[4:5], s30, v8, 0
	v_mov_b32_e32 v4, v3
	v_mad_u64_u32 v[4:5], s[4:5], s31, v8, v[4:5]
	v_mov_b32_e32 v3, v4
	v_lshl_add_u64 v[2:3], v[2:3], 2, s[28:29]
	v_lshlrev_b32_e32 v4, 2, v6
	v_mov_b32_e32 v5, 0
	v_lshl_add_u64 v[2:3], v[2:3], 0, v[4:5]
	v_lshl_add_u64 v[2:3], s[0:1], 2, v[2:3]
	global_load_dword v1, v[2:3], off
	s_waitcnt vmcnt(0)
	v_fma_f32 v1, s38, v1, v0
	global_store_dword v[2:3], v1, off
.LBB2_20:
	s_cbranch_execz .LBB2_23
.LBB2_21:
	s_endpgm
.LBB2_22:
.LBB2_23:
	s_add_i32 s1, s7, s6
	s_mov_b64 s[4:5], -1
	s_and_b64 vcc, exec, s[2:3]
	s_cbranch_vccz .LBB2_25
; %bb.24:
	v_mad_u64_u32 v[2:3], s[2:3], s30, v6, 0
	v_mov_b32_e32 v4, v3
	v_mad_u64_u32 v[4:5], s[2:3], s31, v6, v[4:5]
	v_mov_b32_e32 v3, v4
	v_lshl_add_u64 v[2:3], v[2:3], 2, s[28:29]
	v_lshl_add_u64 v[2:3], v[8:9], 2, v[2:3]
	;; [unrolled: 1-line block ×3, first 2 shown]
	global_store_dword v[2:3], v0, off
	s_mov_b64 s[4:5], 0
.LBB2_25:
	s_andn2_b64 vcc, exec, s[4:5]
	s_cbranch_vccnz .LBB2_21
; %bb.26:
	v_mad_u64_u32 v[2:3], s[2:3], s30, v8, 0
	v_mov_b32_e32 v4, v3
	v_mad_u64_u32 v[4:5], s[2:3], s31, v8, v[4:5]
	v_mov_b32_e32 v3, v4
	v_lshl_add_u64 v[2:3], v[2:3], 2, s[28:29]
	v_lshlrev_b32_e32 v4, 2, v6
	v_mov_b32_e32 v5, 0
	v_lshl_add_u64 v[2:3], v[2:3], 0, v[4:5]
	v_lshl_add_u64 v[2:3], s[0:1], 2, v[2:3]
	global_store_dword v[2:3], v0, off
	s_endpgm
	.section	.rodata,"a",@progbits
	.p2align	6, 0x0
	.amdhsa_kernel _ZN9rocsparse31csrmmnn_row_split_shared_kernelILj256ELj8EfllfffEEvNS_24const_host_device_scalarIT1_EES3_bbbT3_S4_llPKT2_PKS4_PKT4_PKT5_llPT6_ll16rocsparse_order_21rocsparse_index_base_
		.amdhsa_group_segment_fixed_size 3072
		.amdhsa_private_segment_fixed_size 0
		.amdhsa_kernarg_size 136
		.amdhsa_user_sgpr_count 2
		.amdhsa_user_sgpr_dispatch_ptr 0
		.amdhsa_user_sgpr_queue_ptr 0
		.amdhsa_user_sgpr_kernarg_segment_ptr 1
		.amdhsa_user_sgpr_dispatch_id 0
		.amdhsa_user_sgpr_kernarg_preload_length 0
		.amdhsa_user_sgpr_kernarg_preload_offset 0
		.amdhsa_user_sgpr_private_segment_size 0
		.amdhsa_uses_dynamic_stack 0
		.amdhsa_enable_private_segment 0
		.amdhsa_system_sgpr_workgroup_id_x 1
		.amdhsa_system_sgpr_workgroup_id_y 1
		.amdhsa_system_sgpr_workgroup_id_z 1
		.amdhsa_system_sgpr_workgroup_info 0
		.amdhsa_system_vgpr_workitem_id 0
		.amdhsa_next_free_vgpr 44
		.amdhsa_next_free_sgpr 44
		.amdhsa_accum_offset 44
		.amdhsa_reserve_vcc 1
		.amdhsa_float_round_mode_32 0
		.amdhsa_float_round_mode_16_64 0
		.amdhsa_float_denorm_mode_32 3
		.amdhsa_float_denorm_mode_16_64 3
		.amdhsa_dx10_clamp 1
		.amdhsa_ieee_mode 1
		.amdhsa_fp16_overflow 0
		.amdhsa_tg_split 0
		.amdhsa_exception_fp_ieee_invalid_op 0
		.amdhsa_exception_fp_denorm_src 0
		.amdhsa_exception_fp_ieee_div_zero 0
		.amdhsa_exception_fp_ieee_overflow 0
		.amdhsa_exception_fp_ieee_underflow 0
		.amdhsa_exception_fp_ieee_inexact 0
		.amdhsa_exception_int_div_zero 0
	.end_amdhsa_kernel
	.section	.text._ZN9rocsparse31csrmmnn_row_split_shared_kernelILj256ELj8EfllfffEEvNS_24const_host_device_scalarIT1_EES3_bbbT3_S4_llPKT2_PKS4_PKT4_PKT5_llPT6_ll16rocsparse_order_21rocsparse_index_base_,"axG",@progbits,_ZN9rocsparse31csrmmnn_row_split_shared_kernelILj256ELj8EfllfffEEvNS_24const_host_device_scalarIT1_EES3_bbbT3_S4_llPKT2_PKS4_PKT4_PKT5_llPT6_ll16rocsparse_order_21rocsparse_index_base_,comdat
.Lfunc_end2:
	.size	_ZN9rocsparse31csrmmnn_row_split_shared_kernelILj256ELj8EfllfffEEvNS_24const_host_device_scalarIT1_EES3_bbbT3_S4_llPKT2_PKS4_PKT4_PKT5_llPT6_ll16rocsparse_order_21rocsparse_index_base_, .Lfunc_end2-_ZN9rocsparse31csrmmnn_row_split_shared_kernelILj256ELj8EfllfffEEvNS_24const_host_device_scalarIT1_EES3_bbbT3_S4_llPKT2_PKS4_PKT4_PKT5_llPT6_ll16rocsparse_order_21rocsparse_index_base_
                                        ; -- End function
	.set _ZN9rocsparse31csrmmnn_row_split_shared_kernelILj256ELj8EfllfffEEvNS_24const_host_device_scalarIT1_EES3_bbbT3_S4_llPKT2_PKS4_PKT4_PKT5_llPT6_ll16rocsparse_order_21rocsparse_index_base_.num_vgpr, 44
	.set _ZN9rocsparse31csrmmnn_row_split_shared_kernelILj256ELj8EfllfffEEvNS_24const_host_device_scalarIT1_EES3_bbbT3_S4_llPKT2_PKS4_PKT4_PKT5_llPT6_ll16rocsparse_order_21rocsparse_index_base_.num_agpr, 0
	.set _ZN9rocsparse31csrmmnn_row_split_shared_kernelILj256ELj8EfllfffEEvNS_24const_host_device_scalarIT1_EES3_bbbT3_S4_llPKT2_PKS4_PKT4_PKT5_llPT6_ll16rocsparse_order_21rocsparse_index_base_.numbered_sgpr, 44
	.set _ZN9rocsparse31csrmmnn_row_split_shared_kernelILj256ELj8EfllfffEEvNS_24const_host_device_scalarIT1_EES3_bbbT3_S4_llPKT2_PKS4_PKT4_PKT5_llPT6_ll16rocsparse_order_21rocsparse_index_base_.num_named_barrier, 0
	.set _ZN9rocsparse31csrmmnn_row_split_shared_kernelILj256ELj8EfllfffEEvNS_24const_host_device_scalarIT1_EES3_bbbT3_S4_llPKT2_PKS4_PKT4_PKT5_llPT6_ll16rocsparse_order_21rocsparse_index_base_.private_seg_size, 0
	.set _ZN9rocsparse31csrmmnn_row_split_shared_kernelILj256ELj8EfllfffEEvNS_24const_host_device_scalarIT1_EES3_bbbT3_S4_llPKT2_PKS4_PKT4_PKT5_llPT6_ll16rocsparse_order_21rocsparse_index_base_.uses_vcc, 1
	.set _ZN9rocsparse31csrmmnn_row_split_shared_kernelILj256ELj8EfllfffEEvNS_24const_host_device_scalarIT1_EES3_bbbT3_S4_llPKT2_PKS4_PKT4_PKT5_llPT6_ll16rocsparse_order_21rocsparse_index_base_.uses_flat_scratch, 0
	.set _ZN9rocsparse31csrmmnn_row_split_shared_kernelILj256ELj8EfllfffEEvNS_24const_host_device_scalarIT1_EES3_bbbT3_S4_llPKT2_PKS4_PKT4_PKT5_llPT6_ll16rocsparse_order_21rocsparse_index_base_.has_dyn_sized_stack, 0
	.set _ZN9rocsparse31csrmmnn_row_split_shared_kernelILj256ELj8EfllfffEEvNS_24const_host_device_scalarIT1_EES3_bbbT3_S4_llPKT2_PKS4_PKT4_PKT5_llPT6_ll16rocsparse_order_21rocsparse_index_base_.has_recursion, 0
	.set _ZN9rocsparse31csrmmnn_row_split_shared_kernelILj256ELj8EfllfffEEvNS_24const_host_device_scalarIT1_EES3_bbbT3_S4_llPKT2_PKS4_PKT4_PKT5_llPT6_ll16rocsparse_order_21rocsparse_index_base_.has_indirect_call, 0
	.section	.AMDGPU.csdata,"",@progbits
; Kernel info:
; codeLenInByte = 1288
; TotalNumSgprs: 50
; NumVgprs: 44
; NumAgprs: 0
; TotalNumVgprs: 44
; ScratchSize: 0
; MemoryBound: 0
; FloatMode: 240
; IeeeMode: 1
; LDSByteSize: 3072 bytes/workgroup (compile time only)
; SGPRBlocks: 6
; VGPRBlocks: 5
; NumSGPRsForWavesPerEU: 50
; NumVGPRsForWavesPerEU: 44
; AccumOffset: 44
; Occupancy: 8
; WaveLimiterHint : 0
; COMPUTE_PGM_RSRC2:SCRATCH_EN: 0
; COMPUTE_PGM_RSRC2:USER_SGPR: 2
; COMPUTE_PGM_RSRC2:TRAP_HANDLER: 0
; COMPUTE_PGM_RSRC2:TGID_X_EN: 1
; COMPUTE_PGM_RSRC2:TGID_Y_EN: 1
; COMPUTE_PGM_RSRC2:TGID_Z_EN: 1
; COMPUTE_PGM_RSRC2:TIDIG_COMP_CNT: 0
; COMPUTE_PGM_RSRC3_GFX90A:ACCUM_OFFSET: 10
; COMPUTE_PGM_RSRC3_GFX90A:TG_SPLIT: 0
	.section	.text._ZN9rocsparse31csrmmnn_row_split_shared_kernelILj256ELj8EdiidddEEvNS_24const_host_device_scalarIT1_EES3_bbbT3_S4_llPKT2_PKS4_PKT4_PKT5_llPT6_ll16rocsparse_order_21rocsparse_index_base_,"axG",@progbits,_ZN9rocsparse31csrmmnn_row_split_shared_kernelILj256ELj8EdiidddEEvNS_24const_host_device_scalarIT1_EES3_bbbT3_S4_llPKT2_PKS4_PKT4_PKT5_llPT6_ll16rocsparse_order_21rocsparse_index_base_,comdat
	.protected	_ZN9rocsparse31csrmmnn_row_split_shared_kernelILj256ELj8EdiidddEEvNS_24const_host_device_scalarIT1_EES3_bbbT3_S4_llPKT2_PKS4_PKT4_PKT5_llPT6_ll16rocsparse_order_21rocsparse_index_base_ ; -- Begin function _ZN9rocsparse31csrmmnn_row_split_shared_kernelILj256ELj8EdiidddEEvNS_24const_host_device_scalarIT1_EES3_bbbT3_S4_llPKT2_PKS4_PKT4_PKT5_llPT6_ll16rocsparse_order_21rocsparse_index_base_
	.globl	_ZN9rocsparse31csrmmnn_row_split_shared_kernelILj256ELj8EdiidddEEvNS_24const_host_device_scalarIT1_EES3_bbbT3_S4_llPKT2_PKS4_PKT4_PKT5_llPT6_ll16rocsparse_order_21rocsparse_index_base_
	.p2align	8
	.type	_ZN9rocsparse31csrmmnn_row_split_shared_kernelILj256ELj8EdiidddEEvNS_24const_host_device_scalarIT1_EES3_bbbT3_S4_llPKT2_PKS4_PKT4_PKT5_llPT6_ll16rocsparse_order_21rocsparse_index_base_,@function
_ZN9rocsparse31csrmmnn_row_split_shared_kernelILj256ELj8EdiidddEEvNS_24const_host_device_scalarIT1_EES3_bbbT3_S4_llPKT2_PKS4_PKT4_PKT5_llPT6_ll16rocsparse_order_21rocsparse_index_base_: ; @_ZN9rocsparse31csrmmnn_row_split_shared_kernelILj256ELj8EdiidddEEvNS_24const_host_device_scalarIT1_EES3_bbbT3_S4_llPKT2_PKS4_PKT4_PKT5_llPT6_ll16rocsparse_order_21rocsparse_index_base_
; %bb.0:
	s_load_dwordx8 s[20:27], s[0:1], 0x0
	s_waitcnt lgkmcnt(0)
	s_bitcmp1_b32 s24, 0
	s_cselect_b64 s[8:9], -1, 0
	s_xor_b64 s[6:7], s[8:9], -1
	s_and_b64 vcc, exec, s[8:9]
	v_mov_b64_e32 v[6:7], s[20:21]
	s_cbranch_vccnz .LBB3_2
; %bb.1:
	v_mov_b64_e32 v[2:3], s[20:21]
	flat_load_dwordx2 v[6:7], v[2:3]
.LBB3_2:
	s_andn2_b64 vcc, exec, s[6:7]
	v_mov_b64_e32 v[2:3], s[22:23]
	s_cbranch_vccnz .LBB3_4
; %bb.3:
	v_mov_b64_e32 v[2:3], s[22:23]
	flat_load_dwordx2 v[2:3], v[2:3]
.LBB3_4:
	s_waitcnt vmcnt(0) lgkmcnt(0)
	v_cmp_neq_f64_e32 vcc, 0, v[6:7]
	v_cmp_neq_f64_e64 s[6:7], 1.0, v[2:3]
	s_or_b64 s[6:7], vcc, s[6:7]
	s_and_saveexec_b64 s[8:9], s[6:7]
	s_cbranch_execz .LBB3_25
; %bb.5:
	v_lshl_or_b32 v1, s2, 8, v0
	v_lshrrev_b32_e32 v12, 3, v1
	v_cmp_gt_i32_e32 vcc, s25, v12
	s_and_b64 exec, exec, vcc
	s_cbranch_execz .LBB3_25
; %bb.6:
	s_load_dwordx16 s[8:23], s[0:1], 0x20
	s_ashr_i32 s5, s4, 31
	v_lshlrev_b32_e32 v1, 2, v12
	v_and_b32_e32 v13, 7, v0
	v_lshl_or_b32 v4, s3, 3, v13
	s_waitcnt lgkmcnt(0)
	s_mul_hi_u32 s2, s8, s4
	s_mul_i32 s7, s8, s5
	s_mul_i32 s9, s9, s4
	s_add_i32 s2, s2, s7
	s_mul_i32 s6, s8, s4
	s_add_i32 s7, s2, s9
	s_lshl_b64 s[6:7], s[6:7], 2
	s_add_u32 s6, s12, s6
	s_addc_u32 s7, s13, s7
	global_load_dwordx2 v[10:11], v1, s[6:7]
	s_load_dwordx2 s[6:7], s[0:1], 0x78
	v_ashrrev_i32_e32 v5, 31, v4
	v_mov_b64_e32 v[8:9], 0
	s_waitcnt vmcnt(0)
	v_cmp_lt_i32_e32 vcc, v10, v11
	s_and_saveexec_b64 s[8:9], vcc
	s_cbranch_execz .LBB3_14
; %bb.7:
	v_mad_u64_u32 v[8:9], s[2:3], s20, v4, 0
	s_mul_i32 s2, s10, s5
	s_mul_hi_u32 s3, s10, s4
	s_add_i32 s2, s3, s2
	s_mul_i32 s3, s11, s4
	s_waitcnt lgkmcnt(0)
	v_subrev_u32_e32 v15, s7, v10
	v_mul_lo_u32 v10, s21, v4
	v_mul_lo_u32 v16, s20, v5
	s_add_i32 s11, s2, s3
	s_mul_i32 s2, s22, s5
	s_mul_hi_u32 s3, s22, s4
	v_subrev_u32_e32 v14, s7, v11
	v_lshrrev_b32_e32 v11, 3, v0
	v_mov_b32_e32 v0, s18
	v_mov_b32_e32 v1, s19
	v_add3_u32 v9, v9, v16, v10
	v_mov_b32_e32 v10, 0x800
	s_add_i32 s2, s3, s2
	s_mul_i32 s3, s23, s4
	v_lshl_or_b32 v16, v11, 5, v10
	v_lshlrev_b32_e32 v18, 6, v11
	s_add_i32 s3, s2, s3
	s_mul_i32 s2, s22, s4
	v_lshl_add_u64 v[0:1], v[8:9], 3, v[0:1]
	v_lshl_or_b32 v17, v13, 2, v16
	v_lshl_or_b32 v19, v13, 3, v18
	s_mul_i32 s10, s10, s4
	v_cmp_gt_i32_e32 vcc, s26, v4
	v_lshl_add_u64 v[0:1], s[2:3], 3, v[0:1]
	v_mov_b64_e32 v[8:9], 0
	s_mov_b64 s[12:13], 0
	s_branch .LBB3_9
.LBB3_8:                                ;   in Loop: Header=BB3_9 Depth=1
	s_or_b64 exec, exec, s[2:3]
	v_add_u32_e32 v15, 8, v15
	v_cmp_ge_i32_e64 s[2:3], v15, v14
	s_or_b64 s[12:13], s[2:3], s[12:13]
	s_andn2_b64 exec, exec, s[12:13]
	s_cbranch_execz .LBB3_13
.LBB3_9:                                ; =>This Inner Loop Header: Depth=1
	v_add_u32_e32 v10, v13, v15
	v_cmp_lt_i32_e64 s[2:3], v10, v14
	v_mov_b32_e32 v11, 0
	v_mov_b64_e32 v[20:21], 0
	s_barrier
	s_and_saveexec_b64 s[18:19], s[2:3]
	s_cbranch_execz .LBB3_11
; %bb.10:                               ;   in Loop: Header=BB3_9 Depth=1
	v_ashrrev_i32_e32 v11, 31, v10
	v_lshl_add_u64 v[10:11], s[10:11], 0, v[10:11]
	v_lshl_add_u64 v[20:21], v[10:11], 2, s[14:15]
	global_load_dword v22, v[20:21], off
	v_lshl_add_u64 v[10:11], v[10:11], 3, s[16:17]
	global_load_dwordx2 v[20:21], v[10:11], off
	s_waitcnt vmcnt(1)
	v_subrev_u32_e32 v11, s7, v22
.LBB3_11:                               ;   in Loop: Header=BB3_9 Depth=1
	s_or_b64 exec, exec, s[18:19]
	ds_write_b32 v17, v11
	s_waitcnt vmcnt(0)
	ds_write_b64 v19, v[20:21]
	s_waitcnt lgkmcnt(0)
	s_barrier
	s_and_saveexec_b64 s[2:3], vcc
	s_cbranch_execz .LBB3_8
; %bb.12:                               ;   in Loop: Header=BB3_9 Depth=1
	ds_read_b128 v[20:23], v16
	ds_read_b128 v[24:27], v16 offset:16
	s_waitcnt lgkmcnt(1)
	v_ashrrev_i32_e32 v11, 31, v20
	v_mov_b32_e32 v10, v20
	v_ashrrev_i32_e32 v29, 31, v21
	v_mov_b32_e32 v28, v21
	v_lshl_add_u64 v[10:11], v[10:11], 3, v[0:1]
	v_lshl_add_u64 v[20:21], v[28:29], 3, v[0:1]
	v_ashrrev_i32_e32 v29, 31, v22
	v_mov_b32_e32 v28, v22
	v_ashrrev_i32_e32 v31, 31, v23
	v_mov_b32_e32 v30, v23
	v_lshl_add_u64 v[28:29], v[28:29], 3, v[0:1]
	v_lshl_add_u64 v[22:23], v[30:31], 3, v[0:1]
	global_load_dwordx2 v[36:37], v[10:11], off
	global_load_dwordx2 v[38:39], v[20:21], off
	;; [unrolled: 1-line block ×4, first 2 shown]
	s_waitcnt lgkmcnt(0)
	v_ashrrev_i32_e32 v11, 31, v24
	v_mov_b32_e32 v10, v24
	v_lshl_add_u64 v[10:11], v[10:11], 3, v[0:1]
	v_ashrrev_i32_e32 v21, 31, v25
	v_mov_b32_e32 v20, v25
	v_ashrrev_i32_e32 v23, 31, v26
	v_mov_b32_e32 v22, v26
	v_ashrrev_i32_e32 v25, 31, v27
	v_mov_b32_e32 v24, v27
	v_lshl_add_u64 v[20:21], v[20:21], 3, v[0:1]
	v_lshl_add_u64 v[22:23], v[22:23], 3, v[0:1]
	;; [unrolled: 1-line block ×3, first 2 shown]
	global_load_dwordx2 v[44:45], v[10:11], off
	global_load_dwordx2 v[46:47], v[20:21], off
	;; [unrolled: 1-line block ×4, first 2 shown]
	ds_read_b128 v[20:23], v18
	ds_read_b128 v[24:27], v18 offset:16
	ds_read_b128 v[28:31], v18 offset:32
	;; [unrolled: 1-line block ×3, first 2 shown]
	s_waitcnt vmcnt(7) lgkmcnt(3)
	v_fmac_f64_e32 v[8:9], v[20:21], v[36:37]
	s_waitcnt vmcnt(6)
	v_fmac_f64_e32 v[8:9], v[22:23], v[38:39]
	s_waitcnt vmcnt(5) lgkmcnt(2)
	v_fmac_f64_e32 v[8:9], v[24:25], v[40:41]
	s_waitcnt vmcnt(4)
	v_fmac_f64_e32 v[8:9], v[26:27], v[42:43]
	;; [unrolled: 4-line block ×4, first 2 shown]
	s_branch .LBB3_8
.LBB3_13:
	s_or_b64 exec, exec, s[12:13]
.LBB3_14:
	s_or_b64 exec, exec, s[8:9]
	v_cmp_gt_i32_e32 vcc, s26, v4
	s_and_b64 exec, exec, vcc
	s_cbranch_execz .LBB3_25
; %bb.15:
	s_load_dwordx4 s[8:11], s[0:1], 0x60
	s_load_dwordx2 s[16:17], s[0:1], 0x70
	s_waitcnt lgkmcnt(0)
	s_cmp_lg_u32 s6, 1
	v_cmp_neq_f64_e32 vcc, 0, v[2:3]
	s_cselect_b64 s[2:3], -1, 0
	v_mul_f64 v[0:1], v[6:7], v[8:9]
	s_mul_i32 s12, s16, s5
	s_mul_hi_u32 s13, s16, s4
	s_mul_i32 s14, s17, s4
	s_mul_i32 s0, s16, s4
	s_and_saveexec_b64 s[4:5], vcc
	s_xor_b64 s[4:5], exec, s[4:5]
	s_cbranch_execz .LBB3_20
; %bb.16:
	s_add_i32 s1, s13, s12
	s_add_i32 s1, s1, s14
	s_mov_b64 s[6:7], -1
	s_and_b64 vcc, exec, s[2:3]
	s_cbranch_vccz .LBB3_18
; %bb.17:
	v_mad_u64_u32 v[6:7], s[6:7], s10, v12, 0
	v_mov_b32_e32 v8, v7
	v_mad_u64_u32 v[8:9], s[6:7], s11, v12, v[8:9]
	v_mov_b32_e32 v7, v8
	v_lshl_add_u64 v[6:7], v[6:7], 3, s[8:9]
	v_lshl_add_u64 v[6:7], v[4:5], 3, v[6:7]
	;; [unrolled: 1-line block ×3, first 2 shown]
	global_load_dwordx2 v[8:9], v[6:7], off
	s_mov_b64 s[6:7], 0
	s_waitcnt vmcnt(0)
	v_fma_f64 v[8:9], v[2:3], v[8:9], v[0:1]
	global_store_dwordx2 v[6:7], v[8:9], off
.LBB3_18:
	s_andn2_b64 vcc, exec, s[6:7]
	s_cbranch_vccnz .LBB3_20
; %bb.19:
	v_mul_lo_u32 v6, s11, v4
	v_mul_lo_u32 v7, s10, v5
	v_mad_u64_u32 v[4:5], s[6:7], s10, v4, 0
	v_add3_u32 v5, v5, v7, v6
	v_lshl_add_u64 v[4:5], v[4:5], 3, s[8:9]
	v_lshlrev_b32_e32 v6, 3, v12
	v_mov_b32_e32 v7, 0
	v_lshl_add_u64 v[4:5], v[4:5], 0, v[6:7]
	v_lshl_add_u64 v[4:5], s[0:1], 3, v[4:5]
	global_load_dwordx2 v[6:7], v[4:5], off
                                        ; implicit-def: $vgpr12
	s_waitcnt vmcnt(0)
	v_fmac_f64_e32 v[0:1], v[2:3], v[6:7]
	global_store_dwordx2 v[4:5], v[0:1], off
                                        ; implicit-def: $vgpr4_vgpr5
                                        ; implicit-def: $vgpr0_vgpr1
.LBB3_20:
	s_andn2_saveexec_b64 s[4:5], s[4:5]
	s_cbranch_execz .LBB3_25
; %bb.21:
	s_add_i32 s1, s13, s12
	s_add_i32 s1, s1, s14
	s_mov_b64 s[4:5], -1
	s_and_b64 vcc, exec, s[2:3]
	s_cbranch_vccz .LBB3_23
; %bb.22:
	v_mad_u64_u32 v[2:3], s[2:3], s10, v12, 0
	v_mov_b32_e32 v6, v3
	v_mad_u64_u32 v[6:7], s[2:3], s11, v12, v[6:7]
	v_mov_b32_e32 v3, v6
	v_lshl_add_u64 v[2:3], v[2:3], 3, s[8:9]
	v_lshl_add_u64 v[2:3], v[4:5], 3, v[2:3]
	;; [unrolled: 1-line block ×3, first 2 shown]
	global_store_dwordx2 v[2:3], v[0:1], off
	s_mov_b64 s[4:5], 0
.LBB3_23:
	s_andn2_b64 vcc, exec, s[4:5]
	s_cbranch_vccnz .LBB3_25
; %bb.24:
	v_mul_lo_u32 v6, s11, v4
	v_mul_lo_u32 v5, s10, v5
	v_mad_u64_u32 v[2:3], s[2:3], s10, v4, 0
	v_add3_u32 v3, v3, v5, v6
	v_lshl_add_u64 v[2:3], v[2:3], 3, s[8:9]
	v_lshlrev_b32_e32 v4, 3, v12
	v_mov_b32_e32 v5, 0
	v_lshl_add_u64 v[2:3], v[2:3], 0, v[4:5]
	v_lshl_add_u64 v[2:3], s[0:1], 3, v[2:3]
	global_store_dwordx2 v[2:3], v[0:1], off
.LBB3_25:
	s_endpgm
	.section	.rodata,"a",@progbits
	.p2align	6, 0x0
	.amdhsa_kernel _ZN9rocsparse31csrmmnn_row_split_shared_kernelILj256ELj8EdiidddEEvNS_24const_host_device_scalarIT1_EES3_bbbT3_S4_llPKT2_PKS4_PKT4_PKT5_llPT6_ll16rocsparse_order_21rocsparse_index_base_
		.amdhsa_group_segment_fixed_size 3072
		.amdhsa_private_segment_fixed_size 0
		.amdhsa_kernarg_size 128
		.amdhsa_user_sgpr_count 2
		.amdhsa_user_sgpr_dispatch_ptr 0
		.amdhsa_user_sgpr_queue_ptr 0
		.amdhsa_user_sgpr_kernarg_segment_ptr 1
		.amdhsa_user_sgpr_dispatch_id 0
		.amdhsa_user_sgpr_kernarg_preload_length 0
		.amdhsa_user_sgpr_kernarg_preload_offset 0
		.amdhsa_user_sgpr_private_segment_size 0
		.amdhsa_uses_dynamic_stack 0
		.amdhsa_enable_private_segment 0
		.amdhsa_system_sgpr_workgroup_id_x 1
		.amdhsa_system_sgpr_workgroup_id_y 1
		.amdhsa_system_sgpr_workgroup_id_z 1
		.amdhsa_system_sgpr_workgroup_info 0
		.amdhsa_system_vgpr_workitem_id 0
		.amdhsa_next_free_vgpr 52
		.amdhsa_next_free_sgpr 28
		.amdhsa_accum_offset 52
		.amdhsa_reserve_vcc 1
		.amdhsa_float_round_mode_32 0
		.amdhsa_float_round_mode_16_64 0
		.amdhsa_float_denorm_mode_32 3
		.amdhsa_float_denorm_mode_16_64 3
		.amdhsa_dx10_clamp 1
		.amdhsa_ieee_mode 1
		.amdhsa_fp16_overflow 0
		.amdhsa_tg_split 0
		.amdhsa_exception_fp_ieee_invalid_op 0
		.amdhsa_exception_fp_denorm_src 0
		.amdhsa_exception_fp_ieee_div_zero 0
		.amdhsa_exception_fp_ieee_overflow 0
		.amdhsa_exception_fp_ieee_underflow 0
		.amdhsa_exception_fp_ieee_inexact 0
		.amdhsa_exception_int_div_zero 0
	.end_amdhsa_kernel
	.section	.text._ZN9rocsparse31csrmmnn_row_split_shared_kernelILj256ELj8EdiidddEEvNS_24const_host_device_scalarIT1_EES3_bbbT3_S4_llPKT2_PKS4_PKT4_PKT5_llPT6_ll16rocsparse_order_21rocsparse_index_base_,"axG",@progbits,_ZN9rocsparse31csrmmnn_row_split_shared_kernelILj256ELj8EdiidddEEvNS_24const_host_device_scalarIT1_EES3_bbbT3_S4_llPKT2_PKS4_PKT4_PKT5_llPT6_ll16rocsparse_order_21rocsparse_index_base_,comdat
.Lfunc_end3:
	.size	_ZN9rocsparse31csrmmnn_row_split_shared_kernelILj256ELj8EdiidddEEvNS_24const_host_device_scalarIT1_EES3_bbbT3_S4_llPKT2_PKS4_PKT4_PKT5_llPT6_ll16rocsparse_order_21rocsparse_index_base_, .Lfunc_end3-_ZN9rocsparse31csrmmnn_row_split_shared_kernelILj256ELj8EdiidddEEvNS_24const_host_device_scalarIT1_EES3_bbbT3_S4_llPKT2_PKS4_PKT4_PKT5_llPT6_ll16rocsparse_order_21rocsparse_index_base_
                                        ; -- End function
	.set _ZN9rocsparse31csrmmnn_row_split_shared_kernelILj256ELj8EdiidddEEvNS_24const_host_device_scalarIT1_EES3_bbbT3_S4_llPKT2_PKS4_PKT4_PKT5_llPT6_ll16rocsparse_order_21rocsparse_index_base_.num_vgpr, 52
	.set _ZN9rocsparse31csrmmnn_row_split_shared_kernelILj256ELj8EdiidddEEvNS_24const_host_device_scalarIT1_EES3_bbbT3_S4_llPKT2_PKS4_PKT4_PKT5_llPT6_ll16rocsparse_order_21rocsparse_index_base_.num_agpr, 0
	.set _ZN9rocsparse31csrmmnn_row_split_shared_kernelILj256ELj8EdiidddEEvNS_24const_host_device_scalarIT1_EES3_bbbT3_S4_llPKT2_PKS4_PKT4_PKT5_llPT6_ll16rocsparse_order_21rocsparse_index_base_.numbered_sgpr, 28
	.set _ZN9rocsparse31csrmmnn_row_split_shared_kernelILj256ELj8EdiidddEEvNS_24const_host_device_scalarIT1_EES3_bbbT3_S4_llPKT2_PKS4_PKT4_PKT5_llPT6_ll16rocsparse_order_21rocsparse_index_base_.num_named_barrier, 0
	.set _ZN9rocsparse31csrmmnn_row_split_shared_kernelILj256ELj8EdiidddEEvNS_24const_host_device_scalarIT1_EES3_bbbT3_S4_llPKT2_PKS4_PKT4_PKT5_llPT6_ll16rocsparse_order_21rocsparse_index_base_.private_seg_size, 0
	.set _ZN9rocsparse31csrmmnn_row_split_shared_kernelILj256ELj8EdiidddEEvNS_24const_host_device_scalarIT1_EES3_bbbT3_S4_llPKT2_PKS4_PKT4_PKT5_llPT6_ll16rocsparse_order_21rocsparse_index_base_.uses_vcc, 1
	.set _ZN9rocsparse31csrmmnn_row_split_shared_kernelILj256ELj8EdiidddEEvNS_24const_host_device_scalarIT1_EES3_bbbT3_S4_llPKT2_PKS4_PKT4_PKT5_llPT6_ll16rocsparse_order_21rocsparse_index_base_.uses_flat_scratch, 0
	.set _ZN9rocsparse31csrmmnn_row_split_shared_kernelILj256ELj8EdiidddEEvNS_24const_host_device_scalarIT1_EES3_bbbT3_S4_llPKT2_PKS4_PKT4_PKT5_llPT6_ll16rocsparse_order_21rocsparse_index_base_.has_dyn_sized_stack, 0
	.set _ZN9rocsparse31csrmmnn_row_split_shared_kernelILj256ELj8EdiidddEEvNS_24const_host_device_scalarIT1_EES3_bbbT3_S4_llPKT2_PKS4_PKT4_PKT5_llPT6_ll16rocsparse_order_21rocsparse_index_base_.has_recursion, 0
	.set _ZN9rocsparse31csrmmnn_row_split_shared_kernelILj256ELj8EdiidddEEvNS_24const_host_device_scalarIT1_EES3_bbbT3_S4_llPKT2_PKS4_PKT4_PKT5_llPT6_ll16rocsparse_order_21rocsparse_index_base_.has_indirect_call, 0
	.section	.AMDGPU.csdata,"",@progbits
; Kernel info:
; codeLenInByte = 1328
; TotalNumSgprs: 34
; NumVgprs: 52
; NumAgprs: 0
; TotalNumVgprs: 52
; ScratchSize: 0
; MemoryBound: 0
; FloatMode: 240
; IeeeMode: 1
; LDSByteSize: 3072 bytes/workgroup (compile time only)
; SGPRBlocks: 4
; VGPRBlocks: 6
; NumSGPRsForWavesPerEU: 34
; NumVGPRsForWavesPerEU: 52
; AccumOffset: 52
; Occupancy: 8
; WaveLimiterHint : 1
; COMPUTE_PGM_RSRC2:SCRATCH_EN: 0
; COMPUTE_PGM_RSRC2:USER_SGPR: 2
; COMPUTE_PGM_RSRC2:TRAP_HANDLER: 0
; COMPUTE_PGM_RSRC2:TGID_X_EN: 1
; COMPUTE_PGM_RSRC2:TGID_Y_EN: 1
; COMPUTE_PGM_RSRC2:TGID_Z_EN: 1
; COMPUTE_PGM_RSRC2:TIDIG_COMP_CNT: 0
; COMPUTE_PGM_RSRC3_GFX90A:ACCUM_OFFSET: 12
; COMPUTE_PGM_RSRC3_GFX90A:TG_SPLIT: 0
	.section	.text._ZN9rocsparse31csrmmnn_row_split_shared_kernelILj256ELj8EdlidddEEvNS_24const_host_device_scalarIT1_EES3_bbbT3_S4_llPKT2_PKS4_PKT4_PKT5_llPT6_ll16rocsparse_order_21rocsparse_index_base_,"axG",@progbits,_ZN9rocsparse31csrmmnn_row_split_shared_kernelILj256ELj8EdlidddEEvNS_24const_host_device_scalarIT1_EES3_bbbT3_S4_llPKT2_PKS4_PKT4_PKT5_llPT6_ll16rocsparse_order_21rocsparse_index_base_,comdat
	.protected	_ZN9rocsparse31csrmmnn_row_split_shared_kernelILj256ELj8EdlidddEEvNS_24const_host_device_scalarIT1_EES3_bbbT3_S4_llPKT2_PKS4_PKT4_PKT5_llPT6_ll16rocsparse_order_21rocsparse_index_base_ ; -- Begin function _ZN9rocsparse31csrmmnn_row_split_shared_kernelILj256ELj8EdlidddEEvNS_24const_host_device_scalarIT1_EES3_bbbT3_S4_llPKT2_PKS4_PKT4_PKT5_llPT6_ll16rocsparse_order_21rocsparse_index_base_
	.globl	_ZN9rocsparse31csrmmnn_row_split_shared_kernelILj256ELj8EdlidddEEvNS_24const_host_device_scalarIT1_EES3_bbbT3_S4_llPKT2_PKS4_PKT4_PKT5_llPT6_ll16rocsparse_order_21rocsparse_index_base_
	.p2align	8
	.type	_ZN9rocsparse31csrmmnn_row_split_shared_kernelILj256ELj8EdlidddEEvNS_24const_host_device_scalarIT1_EES3_bbbT3_S4_llPKT2_PKS4_PKT4_PKT5_llPT6_ll16rocsparse_order_21rocsparse_index_base_,@function
_ZN9rocsparse31csrmmnn_row_split_shared_kernelILj256ELj8EdlidddEEvNS_24const_host_device_scalarIT1_EES3_bbbT3_S4_llPKT2_PKS4_PKT4_PKT5_llPT6_ll16rocsparse_order_21rocsparse_index_base_: ; @_ZN9rocsparse31csrmmnn_row_split_shared_kernelILj256ELj8EdlidddEEvNS_24const_host_device_scalarIT1_EES3_bbbT3_S4_llPKT2_PKS4_PKT4_PKT5_llPT6_ll16rocsparse_order_21rocsparse_index_base_
; %bb.0:
	s_load_dwordx8 s[20:27], s[0:1], 0x0
	s_waitcnt lgkmcnt(0)
	s_bitcmp1_b32 s24, 0
	s_cselect_b64 s[8:9], -1, 0
	s_xor_b64 s[6:7], s[8:9], -1
	s_and_b64 vcc, exec, s[8:9]
	v_mov_b64_e32 v[12:13], s[20:21]
	s_cbranch_vccnz .LBB4_2
; %bb.1:
	v_mov_b64_e32 v[2:3], s[20:21]
	flat_load_dwordx2 v[12:13], v[2:3]
.LBB4_2:
	s_andn2_b64 vcc, exec, s[6:7]
	v_mov_b64_e32 v[8:9], s[22:23]
	s_cbranch_vccnz .LBB4_4
; %bb.3:
	v_mov_b64_e32 v[2:3], s[22:23]
	flat_load_dwordx2 v[8:9], v[2:3]
.LBB4_4:
	s_waitcnt vmcnt(0) lgkmcnt(0)
	v_cmp_neq_f64_e32 vcc, 0, v[12:13]
	v_cmp_neq_f64_e64 s[6:7], 1.0, v[8:9]
	s_or_b64 s[6:7], vcc, s[6:7]
	s_and_saveexec_b64 s[8:9], s[6:7]
	s_cbranch_execz .LBB4_25
; %bb.5:
	v_lshl_or_b32 v1, s2, 8, v0
	v_lshrrev_b32_e32 v7, 3, v1
	v_cmp_gt_i32_e32 vcc, s25, v7
	s_and_b64 exec, exec, vcc
	s_cbranch_execz .LBB4_25
; %bb.6:
	s_load_dwordx16 s[8:23], s[0:1], 0x20
	s_ashr_i32 s5, s4, 31
	v_lshlrev_b32_e32 v6, 3, v7
	v_and_b32_e32 v14, 7, v0
	v_lshl_or_b32 v10, s3, 3, v14
	s_waitcnt lgkmcnt(0)
	s_mul_hi_u32 s2, s8, s4
	s_mul_i32 s7, s8, s5
	s_mul_i32 s9, s9, s4
	s_add_i32 s2, s2, s7
	s_mul_i32 s6, s8, s4
	s_add_i32 s7, s2, s9
	s_lshl_b64 s[6:7], s[6:7], 3
	s_add_u32 s6, s12, s6
	s_addc_u32 s7, s13, s7
	global_load_dwordx4 v[2:5], v6, s[6:7]
	s_load_dwordx2 s[6:7], s[0:1], 0x78
	v_mov_b32_e32 v15, 0
	v_ashrrev_i32_e32 v11, 31, v10
	v_mov_b64_e32 v[16:17], 0
	s_waitcnt vmcnt(0)
	v_cmp_lt_i64_e32 vcc, v[2:3], v[4:5]
	s_and_saveexec_b64 s[8:9], vcc
	s_cbranch_execz .LBB4_14
; %bb.7:
	v_mad_u64_u32 v[26:27], s[2:3], s20, v10, 0
	v_mul_lo_u32 v22, s21, v10
	v_mul_lo_u32 v23, s20, v11
	s_mul_i32 s2, s22, s5
	s_mul_hi_u32 s3, s22, s4
	s_waitcnt lgkmcnt(0)
	v_subrev_co_u32_e32 v4, vcc, s7, v4
	v_mov_b32_e32 v18, s18
	v_mov_b32_e32 v19, s19
	v_add3_u32 v27, v27, v23, v22
	s_add_i32 s2, s3, s2
	s_mul_i32 s3, s23, s4
	v_subbrev_co_u32_e32 v5, vcc, 0, v5, vcc
	s_add_i32 s3, s2, s3
	s_mul_i32 s2, s22, s4
	v_lshl_add_u64 v[18:19], v[26:27], 3, v[18:19]
	v_lshrrev_b32_e32 v24, 3, v0
	v_subrev_co_u32_e32 v0, vcc, s7, v2
	v_lshl_add_u64 v[18:19], s[2:3], 3, v[18:19]
	s_mul_i32 s2, s11, s4
	s_mul_i32 s3, s10, s5
	v_mov_b32_e32 v26, s4
	v_subbrev_co_u32_e32 v1, vcc, 0, v3, vcc
	s_add_i32 s11, s3, s2
	v_mad_u64_u32 v[2:3], s[2:3], s10, v26, v[2:3]
	v_add_u32_e32 v3, s11, v3
	v_lshl_add_u64 v[2:3], v[2:3], 0, v[14:15]
	v_mov_b32_e32 v22, 0x800
	v_subrev_co_u32_e64 v26, s[2:3], s7, v2
	v_mov_b32_e32 v16, s14
	v_mov_b32_e32 v17, s15
	;; [unrolled: 1-line block ×4, first 2 shown]
	v_lshl_or_b32 v22, v24, 5, v22
	v_lshlrev_b32_e32 v24, 6, v24
	v_subbrev_co_u32_e64 v27, s[2:3], 0, v3, s[2:3]
	v_lshl_or_b32 v23, v14, 2, v22
	v_lshl_or_b32 v25, v14, 3, v24
	v_cmp_gt_i32_e32 vcc, s26, v10
	v_lshl_add_u64 v[2:3], v[26:27], 2, v[16:17]
	v_lshl_add_u64 v[20:21], v[26:27], 3, v[20:21]
	v_mov_b64_e32 v[16:17], 0
	s_mov_b64 s[10:11], 0
	s_branch .LBB4_9
.LBB4_8:                                ;   in Loop: Header=BB4_9 Depth=1
	s_or_b64 exec, exec, s[2:3]
	v_lshl_add_u64 v[0:1], v[0:1], 0, 8
	v_cmp_ge_i64_e64 s[2:3], v[0:1], v[4:5]
	v_lshl_add_u64 v[2:3], v[2:3], 0, 32
	s_or_b64 s[10:11], s[2:3], s[10:11]
	v_lshl_add_u64 v[20:21], v[20:21], 0, 64
	s_andn2_b64 exec, exec, s[10:11]
	s_cbranch_execz .LBB4_13
.LBB4_9:                                ; =>This Inner Loop Header: Depth=1
	v_lshl_add_u64 v[26:27], v[14:15], 0, v[0:1]
	v_cmp_lt_i64_e64 s[2:3], v[26:27], v[4:5]
	v_mov_b32_e32 v26, 0
	v_mov_b64_e32 v[28:29], 0
	s_barrier
	s_and_saveexec_b64 s[12:13], s[2:3]
	s_cbranch_execz .LBB4_11
; %bb.10:                               ;   in Loop: Header=BB4_9 Depth=1
	global_load_dword v26, v[2:3], off
	global_load_dwordx2 v[28:29], v[20:21], off
	s_waitcnt vmcnt(1)
	v_subrev_u32_e32 v26, s7, v26
.LBB4_11:                               ;   in Loop: Header=BB4_9 Depth=1
	s_or_b64 exec, exec, s[12:13]
	ds_write_b32 v23, v26
	s_waitcnt vmcnt(0)
	ds_write_b64 v25, v[28:29]
	s_waitcnt lgkmcnt(0)
	s_barrier
	s_and_saveexec_b64 s[2:3], vcc
	s_cbranch_execz .LBB4_8
; %bb.12:                               ;   in Loop: Header=BB4_9 Depth=1
	ds_read_b128 v[26:29], v22
	ds_read_b128 v[30:33], v22 offset:16
	s_waitcnt lgkmcnt(1)
	v_ashrrev_i32_e32 v35, 31, v26
	v_mov_b32_e32 v34, v26
	v_ashrrev_i32_e32 v37, 31, v27
	v_mov_b32_e32 v36, v27
	v_lshl_add_u64 v[26:27], v[34:35], 3, v[18:19]
	v_lshl_add_u64 v[34:35], v[36:37], 3, v[18:19]
	v_ashrrev_i32_e32 v37, 31, v28
	v_mov_b32_e32 v36, v28
	v_ashrrev_i32_e32 v39, 31, v29
	v_mov_b32_e32 v38, v29
	v_lshl_add_u64 v[36:37], v[36:37], 3, v[18:19]
	v_lshl_add_u64 v[28:29], v[38:39], 3, v[18:19]
	global_load_dwordx2 v[42:43], v[26:27], off
	global_load_dwordx2 v[44:45], v[34:35], off
	;; [unrolled: 1-line block ×4, first 2 shown]
	s_waitcnt lgkmcnt(0)
	v_ashrrev_i32_e32 v27, 31, v30
	v_mov_b32_e32 v26, v30
	v_lshl_add_u64 v[26:27], v[26:27], 3, v[18:19]
	v_ashrrev_i32_e32 v29, 31, v31
	v_mov_b32_e32 v28, v31
	v_ashrrev_i32_e32 v31, 31, v32
	v_mov_b32_e32 v30, v32
	;; [unrolled: 2-line block ×3, first 2 shown]
	v_lshl_add_u64 v[28:29], v[28:29], 3, v[18:19]
	v_lshl_add_u64 v[30:31], v[30:31], 3, v[18:19]
	;; [unrolled: 1-line block ×3, first 2 shown]
	global_load_dwordx2 v[50:51], v[26:27], off
	global_load_dwordx2 v[52:53], v[28:29], off
	;; [unrolled: 1-line block ×4, first 2 shown]
	ds_read_b128 v[26:29], v24
	ds_read_b128 v[30:33], v24 offset:16
	ds_read_b128 v[34:37], v24 offset:32
	;; [unrolled: 1-line block ×3, first 2 shown]
	s_waitcnt vmcnt(7) lgkmcnt(3)
	v_fmac_f64_e32 v[16:17], v[26:27], v[42:43]
	s_waitcnt vmcnt(6)
	v_fmac_f64_e32 v[16:17], v[28:29], v[44:45]
	s_waitcnt vmcnt(5) lgkmcnt(2)
	v_fmac_f64_e32 v[16:17], v[30:31], v[46:47]
	s_waitcnt vmcnt(4)
	v_fmac_f64_e32 v[16:17], v[32:33], v[48:49]
	;; [unrolled: 4-line block ×4, first 2 shown]
	s_branch .LBB4_8
.LBB4_13:
	s_or_b64 exec, exec, s[10:11]
.LBB4_14:
	s_or_b64 exec, exec, s[8:9]
	v_cmp_gt_i32_e32 vcc, s26, v10
	s_and_b64 exec, exec, vcc
	s_cbranch_execz .LBB4_25
; %bb.15:
	s_load_dwordx4 s[8:11], s[0:1], 0x60
	s_load_dwordx2 s[16:17], s[0:1], 0x70
	s_waitcnt lgkmcnt(0)
	s_cmp_lg_u32 s6, 1
	v_cmp_neq_f64_e32 vcc, 0, v[8:9]
	s_cselect_b64 s[2:3], -1, 0
	v_mul_f64 v[0:1], v[12:13], v[16:17]
	s_mul_i32 s12, s16, s5
	s_mul_hi_u32 s13, s16, s4
	s_mul_i32 s14, s17, s4
	s_mul_i32 s0, s16, s4
	s_and_saveexec_b64 s[4:5], vcc
	s_xor_b64 s[4:5], exec, s[4:5]
	s_cbranch_execz .LBB4_20
; %bb.16:
	s_add_i32 s1, s13, s12
	s_add_i32 s1, s1, s14
	s_mov_b64 s[6:7], -1
	s_and_b64 vcc, exec, s[2:3]
	s_cbranch_vccz .LBB4_18
; %bb.17:
	v_mad_u64_u32 v[2:3], s[6:7], s10, v7, 0
	v_mov_b32_e32 v4, v3
	v_mad_u64_u32 v[4:5], s[6:7], s11, v7, v[4:5]
	v_mov_b32_e32 v3, v4
	v_lshl_add_u64 v[2:3], v[2:3], 3, s[8:9]
	v_lshl_add_u64 v[2:3], v[10:11], 3, v[2:3]
	;; [unrolled: 1-line block ×3, first 2 shown]
	global_load_dwordx2 v[4:5], v[2:3], off
	s_mov_b64 s[6:7], 0
	s_waitcnt vmcnt(0)
	v_fma_f64 v[4:5], v[8:9], v[4:5], v[0:1]
	global_store_dwordx2 v[2:3], v[4:5], off
.LBB4_18:
	s_andn2_b64 vcc, exec, s[6:7]
                                        ; implicit-def: $vgpr7
	s_cbranch_vccnz .LBB4_20
; %bb.19:
	v_mul_lo_u32 v4, s11, v10
	v_mul_lo_u32 v5, s10, v11
	v_mad_u64_u32 v[2:3], s[6:7], s10, v10, 0
	v_add3_u32 v3, v3, v5, v4
	v_lshl_add_u64 v[2:3], v[2:3], 3, s[8:9]
	v_mov_b32_e32 v7, 0
	v_lshl_add_u64 v[2:3], v[2:3], 0, v[6:7]
	v_lshl_add_u64 v[2:3], s[0:1], 3, v[2:3]
	global_load_dwordx2 v[4:5], v[2:3], off
                                        ; implicit-def: $vgpr10_vgpr11
                                        ; implicit-def: $vgpr6
                                        ; implicit-def: $vgpr7
	s_waitcnt vmcnt(0)
	v_fmac_f64_e32 v[0:1], v[8:9], v[4:5]
	global_store_dwordx2 v[2:3], v[0:1], off
                                        ; implicit-def: $vgpr0_vgpr1
.LBB4_20:
	s_andn2_saveexec_b64 s[4:5], s[4:5]
	s_cbranch_execz .LBB4_25
; %bb.21:
	s_add_i32 s1, s13, s12
	s_add_i32 s1, s1, s14
	s_mov_b64 s[4:5], -1
	s_and_b64 vcc, exec, s[2:3]
	s_cbranch_vccz .LBB4_23
; %bb.22:
	v_mad_u64_u32 v[2:3], s[2:3], s10, v7, 0
	v_mov_b32_e32 v4, v3
	v_mad_u64_u32 v[4:5], s[2:3], s11, v7, v[4:5]
	v_mov_b32_e32 v3, v4
	v_lshl_add_u64 v[2:3], v[2:3], 3, s[8:9]
	v_lshl_add_u64 v[2:3], v[10:11], 3, v[2:3]
	;; [unrolled: 1-line block ×3, first 2 shown]
	global_store_dwordx2 v[2:3], v[0:1], off
	s_mov_b64 s[4:5], 0
.LBB4_23:
	s_andn2_b64 vcc, exec, s[4:5]
	s_cbranch_vccnz .LBB4_25
; %bb.24:
	v_mul_lo_u32 v4, s11, v10
	v_mul_lo_u32 v5, s10, v11
	v_mad_u64_u32 v[2:3], s[2:3], s10, v10, 0
	v_add3_u32 v3, v3, v5, v4
	v_lshl_add_u64 v[2:3], v[2:3], 3, s[8:9]
	v_mov_b32_e32 v7, 0
	v_lshl_add_u64 v[2:3], v[2:3], 0, v[6:7]
	v_lshl_add_u64 v[2:3], s[0:1], 3, v[2:3]
	global_store_dwordx2 v[2:3], v[0:1], off
.LBB4_25:
	s_endpgm
	.section	.rodata,"a",@progbits
	.p2align	6, 0x0
	.amdhsa_kernel _ZN9rocsparse31csrmmnn_row_split_shared_kernelILj256ELj8EdlidddEEvNS_24const_host_device_scalarIT1_EES3_bbbT3_S4_llPKT2_PKS4_PKT4_PKT5_llPT6_ll16rocsparse_order_21rocsparse_index_base_
		.amdhsa_group_segment_fixed_size 3072
		.amdhsa_private_segment_fixed_size 0
		.amdhsa_kernarg_size 128
		.amdhsa_user_sgpr_count 2
		.amdhsa_user_sgpr_dispatch_ptr 0
		.amdhsa_user_sgpr_queue_ptr 0
		.amdhsa_user_sgpr_kernarg_segment_ptr 1
		.amdhsa_user_sgpr_dispatch_id 0
		.amdhsa_user_sgpr_kernarg_preload_length 0
		.amdhsa_user_sgpr_kernarg_preload_offset 0
		.amdhsa_user_sgpr_private_segment_size 0
		.amdhsa_uses_dynamic_stack 0
		.amdhsa_enable_private_segment 0
		.amdhsa_system_sgpr_workgroup_id_x 1
		.amdhsa_system_sgpr_workgroup_id_y 1
		.amdhsa_system_sgpr_workgroup_id_z 1
		.amdhsa_system_sgpr_workgroup_info 0
		.amdhsa_system_vgpr_workitem_id 0
		.amdhsa_next_free_vgpr 58
		.amdhsa_next_free_sgpr 28
		.amdhsa_accum_offset 60
		.amdhsa_reserve_vcc 1
		.amdhsa_float_round_mode_32 0
		.amdhsa_float_round_mode_16_64 0
		.amdhsa_float_denorm_mode_32 3
		.amdhsa_float_denorm_mode_16_64 3
		.amdhsa_dx10_clamp 1
		.amdhsa_ieee_mode 1
		.amdhsa_fp16_overflow 0
		.amdhsa_tg_split 0
		.amdhsa_exception_fp_ieee_invalid_op 0
		.amdhsa_exception_fp_denorm_src 0
		.amdhsa_exception_fp_ieee_div_zero 0
		.amdhsa_exception_fp_ieee_overflow 0
		.amdhsa_exception_fp_ieee_underflow 0
		.amdhsa_exception_fp_ieee_inexact 0
		.amdhsa_exception_int_div_zero 0
	.end_amdhsa_kernel
	.section	.text._ZN9rocsparse31csrmmnn_row_split_shared_kernelILj256ELj8EdlidddEEvNS_24const_host_device_scalarIT1_EES3_bbbT3_S4_llPKT2_PKS4_PKT4_PKT5_llPT6_ll16rocsparse_order_21rocsparse_index_base_,"axG",@progbits,_ZN9rocsparse31csrmmnn_row_split_shared_kernelILj256ELj8EdlidddEEvNS_24const_host_device_scalarIT1_EES3_bbbT3_S4_llPKT2_PKS4_PKT4_PKT5_llPT6_ll16rocsparse_order_21rocsparse_index_base_,comdat
.Lfunc_end4:
	.size	_ZN9rocsparse31csrmmnn_row_split_shared_kernelILj256ELj8EdlidddEEvNS_24const_host_device_scalarIT1_EES3_bbbT3_S4_llPKT2_PKS4_PKT4_PKT5_llPT6_ll16rocsparse_order_21rocsparse_index_base_, .Lfunc_end4-_ZN9rocsparse31csrmmnn_row_split_shared_kernelILj256ELj8EdlidddEEvNS_24const_host_device_scalarIT1_EES3_bbbT3_S4_llPKT2_PKS4_PKT4_PKT5_llPT6_ll16rocsparse_order_21rocsparse_index_base_
                                        ; -- End function
	.set _ZN9rocsparse31csrmmnn_row_split_shared_kernelILj256ELj8EdlidddEEvNS_24const_host_device_scalarIT1_EES3_bbbT3_S4_llPKT2_PKS4_PKT4_PKT5_llPT6_ll16rocsparse_order_21rocsparse_index_base_.num_vgpr, 58
	.set _ZN9rocsparse31csrmmnn_row_split_shared_kernelILj256ELj8EdlidddEEvNS_24const_host_device_scalarIT1_EES3_bbbT3_S4_llPKT2_PKS4_PKT4_PKT5_llPT6_ll16rocsparse_order_21rocsparse_index_base_.num_agpr, 0
	.set _ZN9rocsparse31csrmmnn_row_split_shared_kernelILj256ELj8EdlidddEEvNS_24const_host_device_scalarIT1_EES3_bbbT3_S4_llPKT2_PKS4_PKT4_PKT5_llPT6_ll16rocsparse_order_21rocsparse_index_base_.numbered_sgpr, 28
	.set _ZN9rocsparse31csrmmnn_row_split_shared_kernelILj256ELj8EdlidddEEvNS_24const_host_device_scalarIT1_EES3_bbbT3_S4_llPKT2_PKS4_PKT4_PKT5_llPT6_ll16rocsparse_order_21rocsparse_index_base_.num_named_barrier, 0
	.set _ZN9rocsparse31csrmmnn_row_split_shared_kernelILj256ELj8EdlidddEEvNS_24const_host_device_scalarIT1_EES3_bbbT3_S4_llPKT2_PKS4_PKT4_PKT5_llPT6_ll16rocsparse_order_21rocsparse_index_base_.private_seg_size, 0
	.set _ZN9rocsparse31csrmmnn_row_split_shared_kernelILj256ELj8EdlidddEEvNS_24const_host_device_scalarIT1_EES3_bbbT3_S4_llPKT2_PKS4_PKT4_PKT5_llPT6_ll16rocsparse_order_21rocsparse_index_base_.uses_vcc, 1
	.set _ZN9rocsparse31csrmmnn_row_split_shared_kernelILj256ELj8EdlidddEEvNS_24const_host_device_scalarIT1_EES3_bbbT3_S4_llPKT2_PKS4_PKT4_PKT5_llPT6_ll16rocsparse_order_21rocsparse_index_base_.uses_flat_scratch, 0
	.set _ZN9rocsparse31csrmmnn_row_split_shared_kernelILj256ELj8EdlidddEEvNS_24const_host_device_scalarIT1_EES3_bbbT3_S4_llPKT2_PKS4_PKT4_PKT5_llPT6_ll16rocsparse_order_21rocsparse_index_base_.has_dyn_sized_stack, 0
	.set _ZN9rocsparse31csrmmnn_row_split_shared_kernelILj256ELj8EdlidddEEvNS_24const_host_device_scalarIT1_EES3_bbbT3_S4_llPKT2_PKS4_PKT4_PKT5_llPT6_ll16rocsparse_order_21rocsparse_index_base_.has_recursion, 0
	.set _ZN9rocsparse31csrmmnn_row_split_shared_kernelILj256ELj8EdlidddEEvNS_24const_host_device_scalarIT1_EES3_bbbT3_S4_llPKT2_PKS4_PKT4_PKT5_llPT6_ll16rocsparse_order_21rocsparse_index_base_.has_indirect_call, 0
	.section	.AMDGPU.csdata,"",@progbits
; Kernel info:
; codeLenInByte = 1388
; TotalNumSgprs: 34
; NumVgprs: 58
; NumAgprs: 0
; TotalNumVgprs: 58
; ScratchSize: 0
; MemoryBound: 0
; FloatMode: 240
; IeeeMode: 1
; LDSByteSize: 3072 bytes/workgroup (compile time only)
; SGPRBlocks: 4
; VGPRBlocks: 7
; NumSGPRsForWavesPerEU: 34
; NumVGPRsForWavesPerEU: 58
; AccumOffset: 60
; Occupancy: 8
; WaveLimiterHint : 1
; COMPUTE_PGM_RSRC2:SCRATCH_EN: 0
; COMPUTE_PGM_RSRC2:USER_SGPR: 2
; COMPUTE_PGM_RSRC2:TRAP_HANDLER: 0
; COMPUTE_PGM_RSRC2:TGID_X_EN: 1
; COMPUTE_PGM_RSRC2:TGID_Y_EN: 1
; COMPUTE_PGM_RSRC2:TGID_Z_EN: 1
; COMPUTE_PGM_RSRC2:TIDIG_COMP_CNT: 0
; COMPUTE_PGM_RSRC3_GFX90A:ACCUM_OFFSET: 14
; COMPUTE_PGM_RSRC3_GFX90A:TG_SPLIT: 0
	.section	.text._ZN9rocsparse31csrmmnn_row_split_shared_kernelILj256ELj8EdlldddEEvNS_24const_host_device_scalarIT1_EES3_bbbT3_S4_llPKT2_PKS4_PKT4_PKT5_llPT6_ll16rocsparse_order_21rocsparse_index_base_,"axG",@progbits,_ZN9rocsparse31csrmmnn_row_split_shared_kernelILj256ELj8EdlldddEEvNS_24const_host_device_scalarIT1_EES3_bbbT3_S4_llPKT2_PKS4_PKT4_PKT5_llPT6_ll16rocsparse_order_21rocsparse_index_base_,comdat
	.protected	_ZN9rocsparse31csrmmnn_row_split_shared_kernelILj256ELj8EdlldddEEvNS_24const_host_device_scalarIT1_EES3_bbbT3_S4_llPKT2_PKS4_PKT4_PKT5_llPT6_ll16rocsparse_order_21rocsparse_index_base_ ; -- Begin function _ZN9rocsparse31csrmmnn_row_split_shared_kernelILj256ELj8EdlldddEEvNS_24const_host_device_scalarIT1_EES3_bbbT3_S4_llPKT2_PKS4_PKT4_PKT5_llPT6_ll16rocsparse_order_21rocsparse_index_base_
	.globl	_ZN9rocsparse31csrmmnn_row_split_shared_kernelILj256ELj8EdlldddEEvNS_24const_host_device_scalarIT1_EES3_bbbT3_S4_llPKT2_PKS4_PKT4_PKT5_llPT6_ll16rocsparse_order_21rocsparse_index_base_
	.p2align	8
	.type	_ZN9rocsparse31csrmmnn_row_split_shared_kernelILj256ELj8EdlldddEEvNS_24const_host_device_scalarIT1_EES3_bbbT3_S4_llPKT2_PKS4_PKT4_PKT5_llPT6_ll16rocsparse_order_21rocsparse_index_base_,@function
_ZN9rocsparse31csrmmnn_row_split_shared_kernelILj256ELj8EdlldddEEvNS_24const_host_device_scalarIT1_EES3_bbbT3_S4_llPKT2_PKS4_PKT4_PKT5_llPT6_ll16rocsparse_order_21rocsparse_index_base_: ; @_ZN9rocsparse31csrmmnn_row_split_shared_kernelILj256ELj8EdlldddEEvNS_24const_host_device_scalarIT1_EES3_bbbT3_S4_llPKT2_PKS4_PKT4_PKT5_llPT6_ll16rocsparse_order_21rocsparse_index_base_
; %bb.0:
	s_load_dword s5, s[0:1], 0x10
	s_load_dwordx4 s[8:11], s[0:1], 0x0
	s_waitcnt lgkmcnt(0)
	s_bitcmp1_b32 s5, 0
	s_cselect_b64 s[12:13], -1, 0
	s_xor_b64 s[6:7], s[12:13], -1
	s_and_b64 vcc, exec, s[12:13]
	v_mov_b64_e32 v[14:15], s[8:9]
	s_cbranch_vccnz .LBB5_2
; %bb.1:
	v_mov_b64_e32 v[2:3], s[8:9]
	flat_load_dwordx2 v[14:15], v[2:3]
.LBB5_2:
	s_andn2_b64 vcc, exec, s[6:7]
	v_mov_b64_e32 v[8:9], s[10:11]
	s_cbranch_vccnz .LBB5_4
; %bb.3:
	v_mov_b64_e32 v[2:3], s[10:11]
	flat_load_dwordx2 v[8:9], v[2:3]
.LBB5_4:
	s_waitcnt vmcnt(0) lgkmcnt(0)
	v_cmp_neq_f64_e32 vcc, 0, v[14:15]
	v_cmp_neq_f64_e64 s[6:7], 1.0, v[8:9]
	s_or_b64 s[6:7], vcc, s[6:7]
	s_and_saveexec_b64 s[8:9], s[6:7]
	s_cbranch_execz .LBB5_25
; %bb.5:
	s_load_dwordx16 s[8:23], s[0:1], 0x18
	v_lshl_or_b32 v1, s2, 8, v0
	v_lshrrev_b32_e32 v12, 3, v1
	v_mov_b32_e32 v13, 0
	s_waitcnt lgkmcnt(0)
	v_cmp_gt_i64_e32 vcc, s[8:9], v[12:13]
	s_and_b64 exec, exec, vcc
	s_cbranch_execz .LBB5_25
; %bb.6:
	s_mul_i32 s2, s13, s4
	s_mul_hi_u32 s5, s12, s4
	s_add_i32 s7, s5, s2
	s_mul_i32 s6, s12, s4
	s_lshl_b64 s[6:7], s[6:7], 3
	s_add_u32 s6, s16, s6
	s_addc_u32 s7, s17, s7
	v_lshlrev_b32_e32 v6, 3, v12
	global_load_dwordx4 v[2:5], v6, s[6:7]
	s_load_dwordx8 s[24:31], s[0:1], 0x58
	s_load_dwordx4 s[36:39], s[0:1], 0x78
	v_and_b32_e32 v16, 7, v0
	v_mov_b32_e32 v11, v13
	v_lshl_or_b32 v10, s3, 3, v16
	v_mov_b64_e32 v[20:21], 0
	s_waitcnt vmcnt(0)
	v_cmp_lt_i64_e32 vcc, v[2:3], v[4:5]
	s_and_saveexec_b64 s[2:3], vcc
	s_cbranch_execz .LBB5_14
; %bb.7:
	s_waitcnt lgkmcnt(0)
	v_mad_u64_u32 v[22:23], s[0:1], s24, v10, 0
	v_mov_b32_e32 v24, v23
	v_lshlrev_b32_e32 v0, 3, v0
	v_subrev_co_u32_e32 v4, vcc, s39, v4
	v_mad_u64_u32 v[24:25], s[0:1], s25, v10, v[24:25]
	v_and_b32_e32 v7, 0x7c0, v0
	v_subbrev_co_u32_e32 v5, vcc, 0, v5, vcc
	v_mov_b32_e32 v20, s22
	v_mov_b32_e32 v21, s23
	;; [unrolled: 1-line block ×3, first 2 shown]
	v_lshlrev_b32_e32 v0, 3, v16
	v_or_b32_e32 v26, 0x800, v7
	s_mul_i32 s0, s27, s4
	s_mul_hi_u32 s1, s26, s4
	v_subrev_co_u32_e32 v18, vcc, s39, v2
	v_or_b32_e32 v13, v7, v0
	v_or_b32_e32 v27, v26, v0
	s_add_i32 s1, s1, s0
	s_mul_i32 s0, s26, s4
	v_lshl_add_u64 v[0:1], v[22:23], 3, v[20:21]
	v_mov_b32_e32 v20, s4
	v_subbrev_co_u32_e32 v19, vcc, 0, v3, vcc
	v_lshl_add_u64 v[0:1], s[0:1], 3, v[0:1]
	v_mad_u64_u32 v[2:3], s[0:1], s14, v20, v[2:3]
	s_mul_i32 s0, s15, s4
	v_mov_b32_e32 v17, 0
	v_add_u32_e32 v3, s0, v3
	v_lshl_add_u64 v[2:3], v[2:3], 0, v[16:17]
	v_subrev_co_u32_e64 v2, s[0:1], s39, v2
	s_mov_b32 s5, s39
	s_nop 0
	v_subbrev_co_u32_e64 v3, s[0:1], 0, v3, s[0:1]
	v_lshlrev_b64 v[20:21], 3, v[2:3]
	v_cmp_gt_i64_e32 vcc, s[10:11], v[10:11]
	v_lshl_add_u64 v[2:3], s[18:19], 0, v[20:21]
	v_lshl_add_u64 v[22:23], s[20:21], 0, v[20:21]
	v_mov_b64_e32 v[20:21], 0
	s_mov_b64 s[6:7], 0
	s_branch .LBB5_9
.LBB5_8:                                ;   in Loop: Header=BB5_9 Depth=1
	s_or_b64 exec, exec, s[0:1]
	v_lshl_add_u64 v[18:19], v[18:19], 0, 8
	v_cmp_ge_i64_e64 s[0:1], v[18:19], v[4:5]
	v_lshl_add_u64 v[2:3], v[2:3], 0, 64
	s_or_b64 s[6:7], s[0:1], s[6:7]
	v_lshl_add_u64 v[22:23], v[22:23], 0, 64
	s_andn2_b64 exec, exec, s[6:7]
	s_cbranch_execz .LBB5_13
.LBB5_9:                                ; =>This Inner Loop Header: Depth=1
	v_lshl_add_u64 v[24:25], v[16:17], 0, v[18:19]
	v_cmp_lt_i64_e64 s[0:1], v[24:25], v[4:5]
	v_mov_b64_e32 v[24:25], 0
	v_mov_b64_e32 v[28:29], 0
	s_barrier
	s_and_saveexec_b64 s[8:9], s[0:1]
	s_cbranch_execz .LBB5_11
; %bb.10:                               ;   in Loop: Header=BB5_9 Depth=1
	global_load_dwordx2 v[24:25], v[2:3], off
	global_load_dwordx2 v[28:29], v[22:23], off
	s_waitcnt vmcnt(1)
	v_subrev_co_u32_e64 v24, s[0:1], s5, v24
	s_nop 1
	v_subbrev_co_u32_e64 v25, s[0:1], 0, v25, s[0:1]
.LBB5_11:                               ;   in Loop: Header=BB5_9 Depth=1
	s_or_b64 exec, exec, s[8:9]
	ds_write_b64 v13, v[24:25]
	s_waitcnt vmcnt(0)
	ds_write_b64 v27, v[28:29]
	s_waitcnt lgkmcnt(0)
	s_barrier
	s_and_saveexec_b64 s[0:1], vcc
	s_cbranch_execz .LBB5_8
; %bb.12:                               ;   in Loop: Header=BB5_9 Depth=1
	ds_read_b128 v[28:31], v7
	ds_read_b128 v[32:35], v7 offset:16
	ds_read_b128 v[36:39], v7 offset:32
	;; [unrolled: 1-line block ×3, first 2 shown]
	s_waitcnt lgkmcnt(3)
	v_lshl_add_u64 v[24:25], v[28:29], 3, v[0:1]
	v_lshl_add_u64 v[28:29], v[30:31], 3, v[0:1]
	s_waitcnt lgkmcnt(2)
	v_lshl_add_u64 v[30:31], v[32:33], 3, v[0:1]
	v_lshl_add_u64 v[32:33], v[34:35], 3, v[0:1]
	global_load_dwordx2 v[44:45], v[24:25], off
	global_load_dwordx2 v[46:47], v[28:29], off
	global_load_dwordx2 v[48:49], v[30:31], off
	global_load_dwordx2 v[50:51], v[32:33], off
	s_waitcnt lgkmcnt(1)
	v_lshl_add_u64 v[24:25], v[36:37], 3, v[0:1]
	v_lshl_add_u64 v[28:29], v[38:39], 3, v[0:1]
	s_waitcnt lgkmcnt(0)
	v_lshl_add_u64 v[30:31], v[40:41], 3, v[0:1]
	v_lshl_add_u64 v[32:33], v[42:43], 3, v[0:1]
	global_load_dwordx2 v[52:53], v[24:25], off
	global_load_dwordx2 v[54:55], v[28:29], off
	;; [unrolled: 1-line block ×4, first 2 shown]
	ds_read_b128 v[28:31], v26
	ds_read_b128 v[32:35], v26 offset:16
	ds_read_b128 v[36:39], v26 offset:32
	;; [unrolled: 1-line block ×3, first 2 shown]
	s_waitcnt vmcnt(7) lgkmcnt(3)
	v_fmac_f64_e32 v[20:21], v[28:29], v[44:45]
	s_waitcnt vmcnt(6)
	v_fmac_f64_e32 v[20:21], v[30:31], v[46:47]
	s_waitcnt vmcnt(5) lgkmcnt(2)
	v_fmac_f64_e32 v[20:21], v[32:33], v[48:49]
	s_waitcnt vmcnt(4)
	v_fmac_f64_e32 v[20:21], v[34:35], v[50:51]
	;; [unrolled: 4-line block ×4, first 2 shown]
	s_branch .LBB5_8
.LBB5_13:
	s_or_b64 exec, exec, s[6:7]
.LBB5_14:
	s_or_b64 exec, exec, s[2:3]
	v_cmp_gt_i64_e32 vcc, s[10:11], v[10:11]
	s_and_b64 exec, exec, vcc
	s_cbranch_execz .LBB5_25
; %bb.15:
	s_waitcnt lgkmcnt(0)
	s_cmp_lg_u32 s38, 1
	v_cmp_neq_f64_e32 vcc, 0, v[8:9]
	s_cselect_b64 s[2:3], -1, 0
	v_mul_f64 v[0:1], v[14:15], v[20:21]
	s_mul_i32 s8, s37, s4
	s_mul_hi_u32 s9, s36, s4
	s_mul_i32 s0, s36, s4
	s_and_saveexec_b64 s[4:5], vcc
	s_xor_b64 s[4:5], exec, s[4:5]
	s_cbranch_execz .LBB5_20
; %bb.16:
	s_add_i32 s1, s9, s8
	s_mov_b64 s[6:7], -1
	s_and_b64 vcc, exec, s[2:3]
	s_cbranch_vccz .LBB5_18
; %bb.17:
	v_mad_u64_u32 v[2:3], s[6:7], s30, v12, 0
	v_mov_b32_e32 v4, v3
	v_mad_u64_u32 v[4:5], s[6:7], s31, v12, v[4:5]
	v_mov_b32_e32 v3, v4
	v_lshl_add_u64 v[2:3], v[2:3], 3, s[28:29]
	v_lshl_add_u64 v[2:3], v[10:11], 3, v[2:3]
	v_lshl_add_u64 v[2:3], s[0:1], 3, v[2:3]
	global_load_dwordx2 v[4:5], v[2:3], off
	s_mov_b64 s[6:7], 0
	s_waitcnt vmcnt(0)
	v_fma_f64 v[4:5], v[8:9], v[4:5], v[0:1]
	global_store_dwordx2 v[2:3], v[4:5], off
.LBB5_18:
	s_andn2_b64 vcc, exec, s[6:7]
                                        ; implicit-def: $vgpr12_vgpr13
	s_cbranch_vccnz .LBB5_20
; %bb.19:
	v_mad_u64_u32 v[2:3], s[6:7], s30, v10, 0
	v_mov_b32_e32 v4, v3
	v_mad_u64_u32 v[4:5], s[6:7], s31, v10, v[4:5]
	v_mov_b32_e32 v3, v4
	v_lshl_add_u64 v[2:3], v[2:3], 3, s[28:29]
	v_mov_b32_e32 v7, 0
	v_lshl_add_u64 v[2:3], v[2:3], 0, v[6:7]
	v_lshl_add_u64 v[2:3], s[0:1], 3, v[2:3]
	global_load_dwordx2 v[4:5], v[2:3], off
                                        ; implicit-def: $vgpr10_vgpr11
                                        ; implicit-def: $vgpr6
                                        ; implicit-def: $vgpr12_vgpr13
	s_waitcnt vmcnt(0)
	v_fmac_f64_e32 v[0:1], v[8:9], v[4:5]
	global_store_dwordx2 v[2:3], v[0:1], off
                                        ; implicit-def: $vgpr0_vgpr1
.LBB5_20:
	s_andn2_saveexec_b64 s[4:5], s[4:5]
	s_cbranch_execz .LBB5_25
; %bb.21:
	s_add_i32 s1, s9, s8
	s_mov_b64 s[4:5], -1
	s_and_b64 vcc, exec, s[2:3]
	s_cbranch_vccz .LBB5_23
; %bb.22:
	v_mad_u64_u32 v[2:3], s[2:3], s30, v12, 0
	v_mov_b32_e32 v4, v3
	v_mad_u64_u32 v[4:5], s[2:3], s31, v12, v[4:5]
	v_mov_b32_e32 v3, v4
	v_lshl_add_u64 v[2:3], v[2:3], 3, s[28:29]
	v_lshl_add_u64 v[2:3], v[10:11], 3, v[2:3]
	;; [unrolled: 1-line block ×3, first 2 shown]
	global_store_dwordx2 v[2:3], v[0:1], off
	s_mov_b64 s[4:5], 0
.LBB5_23:
	s_andn2_b64 vcc, exec, s[4:5]
	s_cbranch_vccnz .LBB5_25
; %bb.24:
	v_mad_u64_u32 v[2:3], s[2:3], s30, v10, 0
	v_mov_b32_e32 v4, v3
	v_mad_u64_u32 v[4:5], s[2:3], s31, v10, v[4:5]
	v_mov_b32_e32 v3, v4
	v_lshl_add_u64 v[2:3], v[2:3], 3, s[28:29]
	v_mov_b32_e32 v7, 0
	v_lshl_add_u64 v[2:3], v[2:3], 0, v[6:7]
	v_lshl_add_u64 v[2:3], s[0:1], 3, v[2:3]
	global_store_dwordx2 v[2:3], v[0:1], off
.LBB5_25:
	s_endpgm
	.section	.rodata,"a",@progbits
	.p2align	6, 0x0
	.amdhsa_kernel _ZN9rocsparse31csrmmnn_row_split_shared_kernelILj256ELj8EdlldddEEvNS_24const_host_device_scalarIT1_EES3_bbbT3_S4_llPKT2_PKS4_PKT4_PKT5_llPT6_ll16rocsparse_order_21rocsparse_index_base_
		.amdhsa_group_segment_fixed_size 4096
		.amdhsa_private_segment_fixed_size 0
		.amdhsa_kernarg_size 136
		.amdhsa_user_sgpr_count 2
		.amdhsa_user_sgpr_dispatch_ptr 0
		.amdhsa_user_sgpr_queue_ptr 0
		.amdhsa_user_sgpr_kernarg_segment_ptr 1
		.amdhsa_user_sgpr_dispatch_id 0
		.amdhsa_user_sgpr_kernarg_preload_length 0
		.amdhsa_user_sgpr_kernarg_preload_offset 0
		.amdhsa_user_sgpr_private_segment_size 0
		.amdhsa_uses_dynamic_stack 0
		.amdhsa_enable_private_segment 0
		.amdhsa_system_sgpr_workgroup_id_x 1
		.amdhsa_system_sgpr_workgroup_id_y 1
		.amdhsa_system_sgpr_workgroup_id_z 1
		.amdhsa_system_sgpr_workgroup_info 0
		.amdhsa_system_vgpr_workitem_id 0
		.amdhsa_next_free_vgpr 60
		.amdhsa_next_free_sgpr 40
		.amdhsa_accum_offset 60
		.amdhsa_reserve_vcc 1
		.amdhsa_float_round_mode_32 0
		.amdhsa_float_round_mode_16_64 0
		.amdhsa_float_denorm_mode_32 3
		.amdhsa_float_denorm_mode_16_64 3
		.amdhsa_dx10_clamp 1
		.amdhsa_ieee_mode 1
		.amdhsa_fp16_overflow 0
		.amdhsa_tg_split 0
		.amdhsa_exception_fp_ieee_invalid_op 0
		.amdhsa_exception_fp_denorm_src 0
		.amdhsa_exception_fp_ieee_div_zero 0
		.amdhsa_exception_fp_ieee_overflow 0
		.amdhsa_exception_fp_ieee_underflow 0
		.amdhsa_exception_fp_ieee_inexact 0
		.amdhsa_exception_int_div_zero 0
	.end_amdhsa_kernel
	.section	.text._ZN9rocsparse31csrmmnn_row_split_shared_kernelILj256ELj8EdlldddEEvNS_24const_host_device_scalarIT1_EES3_bbbT3_S4_llPKT2_PKS4_PKT4_PKT5_llPT6_ll16rocsparse_order_21rocsparse_index_base_,"axG",@progbits,_ZN9rocsparse31csrmmnn_row_split_shared_kernelILj256ELj8EdlldddEEvNS_24const_host_device_scalarIT1_EES3_bbbT3_S4_llPKT2_PKS4_PKT4_PKT5_llPT6_ll16rocsparse_order_21rocsparse_index_base_,comdat
.Lfunc_end5:
	.size	_ZN9rocsparse31csrmmnn_row_split_shared_kernelILj256ELj8EdlldddEEvNS_24const_host_device_scalarIT1_EES3_bbbT3_S4_llPKT2_PKS4_PKT4_PKT5_llPT6_ll16rocsparse_order_21rocsparse_index_base_, .Lfunc_end5-_ZN9rocsparse31csrmmnn_row_split_shared_kernelILj256ELj8EdlldddEEvNS_24const_host_device_scalarIT1_EES3_bbbT3_S4_llPKT2_PKS4_PKT4_PKT5_llPT6_ll16rocsparse_order_21rocsparse_index_base_
                                        ; -- End function
	.set _ZN9rocsparse31csrmmnn_row_split_shared_kernelILj256ELj8EdlldddEEvNS_24const_host_device_scalarIT1_EES3_bbbT3_S4_llPKT2_PKS4_PKT4_PKT5_llPT6_ll16rocsparse_order_21rocsparse_index_base_.num_vgpr, 60
	.set _ZN9rocsparse31csrmmnn_row_split_shared_kernelILj256ELj8EdlldddEEvNS_24const_host_device_scalarIT1_EES3_bbbT3_S4_llPKT2_PKS4_PKT4_PKT5_llPT6_ll16rocsparse_order_21rocsparse_index_base_.num_agpr, 0
	.set _ZN9rocsparse31csrmmnn_row_split_shared_kernelILj256ELj8EdlldddEEvNS_24const_host_device_scalarIT1_EES3_bbbT3_S4_llPKT2_PKS4_PKT4_PKT5_llPT6_ll16rocsparse_order_21rocsparse_index_base_.numbered_sgpr, 40
	.set _ZN9rocsparse31csrmmnn_row_split_shared_kernelILj256ELj8EdlldddEEvNS_24const_host_device_scalarIT1_EES3_bbbT3_S4_llPKT2_PKS4_PKT4_PKT5_llPT6_ll16rocsparse_order_21rocsparse_index_base_.num_named_barrier, 0
	.set _ZN9rocsparse31csrmmnn_row_split_shared_kernelILj256ELj8EdlldddEEvNS_24const_host_device_scalarIT1_EES3_bbbT3_S4_llPKT2_PKS4_PKT4_PKT5_llPT6_ll16rocsparse_order_21rocsparse_index_base_.private_seg_size, 0
	.set _ZN9rocsparse31csrmmnn_row_split_shared_kernelILj256ELj8EdlldddEEvNS_24const_host_device_scalarIT1_EES3_bbbT3_S4_llPKT2_PKS4_PKT4_PKT5_llPT6_ll16rocsparse_order_21rocsparse_index_base_.uses_vcc, 1
	.set _ZN9rocsparse31csrmmnn_row_split_shared_kernelILj256ELj8EdlldddEEvNS_24const_host_device_scalarIT1_EES3_bbbT3_S4_llPKT2_PKS4_PKT4_PKT5_llPT6_ll16rocsparse_order_21rocsparse_index_base_.uses_flat_scratch, 0
	.set _ZN9rocsparse31csrmmnn_row_split_shared_kernelILj256ELj8EdlldddEEvNS_24const_host_device_scalarIT1_EES3_bbbT3_S4_llPKT2_PKS4_PKT4_PKT5_llPT6_ll16rocsparse_order_21rocsparse_index_base_.has_dyn_sized_stack, 0
	.set _ZN9rocsparse31csrmmnn_row_split_shared_kernelILj256ELj8EdlldddEEvNS_24const_host_device_scalarIT1_EES3_bbbT3_S4_llPKT2_PKS4_PKT4_PKT5_llPT6_ll16rocsparse_order_21rocsparse_index_base_.has_recursion, 0
	.set _ZN9rocsparse31csrmmnn_row_split_shared_kernelILj256ELj8EdlldddEEvNS_24const_host_device_scalarIT1_EES3_bbbT3_S4_llPKT2_PKS4_PKT4_PKT5_llPT6_ll16rocsparse_order_21rocsparse_index_base_.has_indirect_call, 0
	.section	.AMDGPU.csdata,"",@progbits
; Kernel info:
; codeLenInByte = 1296
; TotalNumSgprs: 46
; NumVgprs: 60
; NumAgprs: 0
; TotalNumVgprs: 60
; ScratchSize: 0
; MemoryBound: 0
; FloatMode: 240
; IeeeMode: 1
; LDSByteSize: 4096 bytes/workgroup (compile time only)
; SGPRBlocks: 5
; VGPRBlocks: 7
; NumSGPRsForWavesPerEU: 46
; NumVGPRsForWavesPerEU: 60
; AccumOffset: 60
; Occupancy: 8
; WaveLimiterHint : 0
; COMPUTE_PGM_RSRC2:SCRATCH_EN: 0
; COMPUTE_PGM_RSRC2:USER_SGPR: 2
; COMPUTE_PGM_RSRC2:TRAP_HANDLER: 0
; COMPUTE_PGM_RSRC2:TGID_X_EN: 1
; COMPUTE_PGM_RSRC2:TGID_Y_EN: 1
; COMPUTE_PGM_RSRC2:TGID_Z_EN: 1
; COMPUTE_PGM_RSRC2:TIDIG_COMP_CNT: 0
; COMPUTE_PGM_RSRC3_GFX90A:ACCUM_OFFSET: 14
; COMPUTE_PGM_RSRC3_GFX90A:TG_SPLIT: 0
	.section	.text._ZN9rocsparse31csrmmnn_row_split_shared_kernelILj256ELj8E21rocsparse_complex_numIfEiiS2_S2_S2_EEvNS_24const_host_device_scalarIT1_EES5_bbbT3_S6_llPKT2_PKS6_PKT4_PKT5_llPT6_ll16rocsparse_order_21rocsparse_index_base_,"axG",@progbits,_ZN9rocsparse31csrmmnn_row_split_shared_kernelILj256ELj8E21rocsparse_complex_numIfEiiS2_S2_S2_EEvNS_24const_host_device_scalarIT1_EES5_bbbT3_S6_llPKT2_PKS6_PKT4_PKT5_llPT6_ll16rocsparse_order_21rocsparse_index_base_,comdat
	.protected	_ZN9rocsparse31csrmmnn_row_split_shared_kernelILj256ELj8E21rocsparse_complex_numIfEiiS2_S2_S2_EEvNS_24const_host_device_scalarIT1_EES5_bbbT3_S6_llPKT2_PKS6_PKT4_PKT5_llPT6_ll16rocsparse_order_21rocsparse_index_base_ ; -- Begin function _ZN9rocsparse31csrmmnn_row_split_shared_kernelILj256ELj8E21rocsparse_complex_numIfEiiS2_S2_S2_EEvNS_24const_host_device_scalarIT1_EES5_bbbT3_S6_llPKT2_PKS6_PKT4_PKT5_llPT6_ll16rocsparse_order_21rocsparse_index_base_
	.globl	_ZN9rocsparse31csrmmnn_row_split_shared_kernelILj256ELj8E21rocsparse_complex_numIfEiiS2_S2_S2_EEvNS_24const_host_device_scalarIT1_EES5_bbbT3_S6_llPKT2_PKS6_PKT4_PKT5_llPT6_ll16rocsparse_order_21rocsparse_index_base_
	.p2align	8
	.type	_ZN9rocsparse31csrmmnn_row_split_shared_kernelILj256ELj8E21rocsparse_complex_numIfEiiS2_S2_S2_EEvNS_24const_host_device_scalarIT1_EES5_bbbT3_S6_llPKT2_PKS6_PKT4_PKT5_llPT6_ll16rocsparse_order_21rocsparse_index_base_,@function
_ZN9rocsparse31csrmmnn_row_split_shared_kernelILj256ELj8E21rocsparse_complex_numIfEiiS2_S2_S2_EEvNS_24const_host_device_scalarIT1_EES5_bbbT3_S6_llPKT2_PKS6_PKT4_PKT5_llPT6_ll16rocsparse_order_21rocsparse_index_base_: ; @_ZN9rocsparse31csrmmnn_row_split_shared_kernelILj256ELj8E21rocsparse_complex_numIfEiiS2_S2_S2_EEvNS_24const_host_device_scalarIT1_EES5_bbbT3_S6_llPKT2_PKS6_PKT4_PKT5_llPT6_ll16rocsparse_order_21rocsparse_index_base_
; %bb.0:
	s_load_dword s30, s[0:1], 0x10
	s_load_dwordx4 s[8:11], s[0:1], 0x0
	s_or_b32 s5, s0, 8
	s_waitcnt lgkmcnt(0)
	s_bitcmp1_b32 s30, 0
	s_cselect_b32 s6, s1, s9
	s_cselect_b32 s7, s0, s8
	v_mov_b32_e32 v2, s7
	v_mov_b32_e32 v3, s6
	s_cselect_b32 s6, s1, s11
	s_cselect_b32 s5, s5, s10
	flat_load_dwordx2 v[6:7], v[2:3]
	v_mov_b32_e32 v2, s5
	v_mov_b32_e32 v3, s6
	flat_load_dwordx2 v[2:3], v[2:3]
	s_waitcnt vmcnt(0) lgkmcnt(0)
	v_cmp_eq_f32_e64 s[6:7], 0, v6
	v_cmp_eq_f32_e64 s[8:9], 0, v7
	s_and_b64 s[6:7], s[6:7], s[8:9]
	v_cmp_eq_f32_e64 s[10:11], 1.0, v2
	v_cmp_eq_f32_e32 vcc, 0, v3
	s_and_b64 s[8:9], s[10:11], vcc
	s_and_b64 s[6:7], s[6:7], s[8:9]
	s_xor_b64 s[6:7], s[6:7], -1
	s_and_saveexec_b64 s[8:9], s[6:7]
	s_cbranch_execz .LBB6_21
; %bb.1:
	s_load_dwordx4 s[24:27], s[0:1], 0x10
	v_lshl_or_b32 v1, s2, 8, v0
	v_lshrrev_b32_e32 v14, 3, v1
	s_waitcnt lgkmcnt(0)
	v_cmp_gt_i32_e64 s[6:7], s25, v14
	s_and_b64 exec, exec, s[6:7]
	s_cbranch_execz .LBB6_21
; %bb.2:
	s_load_dwordx16 s[8:23], s[0:1], 0x20
	s_ashr_i32 s5, s4, 31
	v_lshlrev_b32_e32 v1, 2, v14
	v_and_b32_e32 v15, 7, v0
	v_mov_b32_e32 v9, 0
	s_waitcnt lgkmcnt(0)
	s_mul_hi_u32 s2, s8, s4
	s_mul_i32 s7, s8, s5
	s_mul_i32 s9, s9, s4
	s_add_i32 s2, s2, s7
	s_mul_i32 s6, s8, s4
	s_add_i32 s7, s2, s9
	s_lshl_b64 s[6:7], s[6:7], 2
	s_add_u32 s6, s12, s6
	s_addc_u32 s7, s13, s7
	global_load_dwordx2 v[10:11], v1, s[6:7]
	s_load_dwordx2 s[12:13], s[0:1], 0x78
	v_lshl_or_b32 v4, s3, 3, v15
	v_ashrrev_i32_e32 v5, 31, v4
	v_mov_b32_e32 v8, v9
	s_waitcnt vmcnt(0)
	v_cmp_lt_i32_e64 s[2:3], v10, v11
	s_and_saveexec_b64 s[28:29], s[2:3]
	s_cbranch_execz .LBB6_10
; %bb.3:
	s_bitcmp1_b32 s30, 8
	s_cselect_b64 s[2:3], -1, 0
	s_bitcmp1_b32 s24, 16
	s_waitcnt lgkmcnt(0)
	v_subrev_u32_e32 v17, s13, v10
	v_mul_lo_u32 v10, s21, v4
	v_mul_lo_u32 v12, s20, v5
	v_mad_u64_u32 v[8:9], s[6:7], s20, v4, 0
	s_mul_i32 s8, s22, s5
	s_mul_hi_u32 s9, s22, s4
	v_subrev_u32_e32 v16, s13, v11
	v_lshrrev_b32_e32 v11, 3, v0
	s_cselect_b64 s[24:25], -1, 0
	v_mov_b32_e32 v0, s18
	v_mov_b32_e32 v1, s19
	v_add3_u32 v9, v9, v12, v10
	v_mov_b32_e32 v10, 0x800
	s_mul_i32 s6, s10, s5
	s_mul_hi_u32 s7, s10, s4
	s_add_i32 s8, s9, s8
	s_mul_i32 s9, s23, s4
	v_lshl_or_b32 v18, v11, 5, v10
	v_lshlrev_b32_e32 v20, 6, v11
	s_add_i32 s6, s7, s6
	s_mul_i32 s7, s11, s4
	s_add_i32 s9, s8, s9
	s_mul_i32 s8, s22, s4
	v_lshl_add_u64 v[0:1], v[8:9], 3, v[0:1]
	v_mov_b32_e32 v8, 0
	v_lshl_or_b32 v19, v15, 2, v18
	v_lshl_or_b32 v21, v15, 3, v20
	s_add_i32 s11, s6, s7
	s_mul_i32 s10, s10, s4
	v_cmp_gt_i32_e64 s[6:7], s26, v4
	v_lshl_add_u64 v[0:1], s[8:9], 3, v[0:1]
	s_mov_b64 s[18:19], 0
	v_mov_b32_e32 v9, v8
	s_branch .LBB6_5
.LBB6_4:                                ;   in Loop: Header=BB6_5 Depth=1
	s_or_b64 exec, exec, s[8:9]
	v_add_u32_e32 v17, 8, v17
	v_cmp_ge_i32_e64 s[8:9], v17, v16
	s_or_b64 s[18:19], s[8:9], s[18:19]
	s_andn2_b64 exec, exec, s[18:19]
	s_cbranch_execz .LBB6_9
.LBB6_5:                                ; =>This Inner Loop Header: Depth=1
	v_add_u32_e32 v12, v15, v17
	v_cmp_lt_i32_e64 s[8:9], v12, v16
	v_mov_b32_e32 v13, 0
	v_mov_b32_e32 v10, 0
	;; [unrolled: 1-line block ×3, first 2 shown]
	s_barrier
	s_and_saveexec_b64 s[20:21], s[8:9]
	s_cbranch_execz .LBB6_7
; %bb.6:                                ;   in Loop: Header=BB6_5 Depth=1
	v_ashrrev_i32_e32 v13, 31, v12
	v_lshl_add_u64 v[10:11], s[10:11], 0, v[12:13]
	v_lshl_add_u64 v[12:13], v[10:11], 2, s[14:15]
	;; [unrolled: 1-line block ×3, first 2 shown]
	global_load_dword v12, v[12:13], off
	s_waitcnt vmcnt(0)
	v_subrev_u32_e32 v13, s13, v12
	global_load_dwordx2 v[10:11], v[10:11], off
	s_waitcnt vmcnt(0)
	v_xor_b32_e32 v12, 0x80000000, v11
	v_cndmask_b32_e64 v11, v11, v12, s[2:3]
.LBB6_7:                                ;   in Loop: Header=BB6_5 Depth=1
	s_or_b64 exec, exec, s[20:21]
	ds_write_b32 v19, v13
	ds_write_b64 v21, v[10:11]
	s_waitcnt lgkmcnt(0)
	s_barrier
	s_and_saveexec_b64 s[8:9], s[6:7]
	s_cbranch_execz .LBB6_4
; %bb.8:                                ;   in Loop: Header=BB6_5 Depth=1
	ds_read_b128 v[10:13], v18
	ds_read_b128 v[22:25], v18 offset:16
	s_waitcnt lgkmcnt(1)
	v_ashrrev_i32_e32 v27, 31, v10
	v_mov_b32_e32 v26, v10
	v_ashrrev_i32_e32 v29, 31, v11
	v_mov_b32_e32 v28, v11
	v_lshl_add_u64 v[10:11], v[26:27], 3, v[0:1]
	v_lshl_add_u64 v[26:27], v[28:29], 3, v[0:1]
	v_ashrrev_i32_e32 v29, 31, v12
	v_mov_b32_e32 v28, v12
	v_ashrrev_i32_e32 v31, 31, v13
	v_mov_b32_e32 v30, v13
	v_lshl_add_u64 v[28:29], v[28:29], 3, v[0:1]
	v_lshl_add_u64 v[12:13], v[30:31], 3, v[0:1]
	global_load_dwordx2 v[34:35], v[10:11], off
	global_load_dwordx2 v[36:37], v[26:27], off
	;; [unrolled: 1-line block ×4, first 2 shown]
	s_waitcnt lgkmcnt(0)
	v_ashrrev_i32_e32 v11, 31, v22
	v_mov_b32_e32 v10, v22
	v_lshl_add_u64 v[10:11], v[10:11], 3, v[0:1]
	global_load_dwordx2 v[42:43], v[10:11], off
	v_ashrrev_i32_e32 v13, 31, v23
	v_mov_b32_e32 v12, v23
	v_lshl_add_u64 v[12:13], v[12:13], 3, v[0:1]
	v_ashrrev_i32_e32 v23, 31, v24
	v_mov_b32_e32 v22, v24
	v_ashrrev_i32_e32 v27, 31, v25
	v_mov_b32_e32 v26, v25
	v_lshl_add_u64 v[22:23], v[22:23], 3, v[0:1]
	v_lshl_add_u64 v[10:11], v[26:27], 3, v[0:1]
	global_load_dwordx2 v[44:45], v[12:13], off
	global_load_dwordx2 v[46:47], v[22:23], off
	;; [unrolled: 1-line block ×3, first 2 shown]
	ds_read_b128 v[10:13], v20
	ds_read_b128 v[22:25], v20 offset:16
	ds_read_b128 v[26:29], v20 offset:32
	;; [unrolled: 1-line block ×3, first 2 shown]
	s_waitcnt lgkmcnt(3)
	v_xor_b32_e32 v50, 0x80000000, v13
	v_mov_b32_e32 v51, v12
	s_waitcnt lgkmcnt(2)
	v_xor_b32_e32 v52, 0x80000000, v25
	v_mov_b32_e32 v53, v24
	;; [unrolled: 3-line block ×4, first 2 shown]
	s_waitcnt vmcnt(7)
	v_cndmask_b32_e64 v58, v35, -v35, s[24:25]
	v_pk_fma_f32 v[8:9], v[10:11], v[34:35], v[8:9] op_sel_hi:[1,0,1]
	s_waitcnt vmcnt(6)
	v_cndmask_b32_e64 v60, v37, -v37, s[24:25]
	v_pk_fma_f32 v[8:9], v[10:11], v[58:59], v[8:9] op_sel:[1,0,0] op_sel_hi:[0,0,1] neg_lo:[1,0,0]
	v_pk_fma_f32 v[8:9], v[12:13], v[36:37], v[8:9] op_sel_hi:[1,0,1]
	s_waitcnt vmcnt(5)
	v_cndmask_b32_e64 v34, v39, -v39, s[24:25]
	v_pk_fma_f32 v[8:9], v[50:51], v[60:61], v[8:9] op_sel_hi:[1,0,1]
	s_waitcnt vmcnt(4)
	v_cndmask_b32_e64 v62, v41, -v41, s[24:25]
	;; [unrolled: 3-line block ×3, first 2 shown]
	v_pk_fma_f32 v[8:9], v[22:23], v[34:35], v[8:9] op_sel:[1,0,0] op_sel_hi:[0,0,1] neg_lo:[1,0,0]
	v_pk_fma_f32 v[8:9], v[24:25], v[40:41], v[8:9] op_sel_hi:[1,0,1]
	s_waitcnt vmcnt(2)
	v_cndmask_b32_e64 v12, v45, -v45, s[24:25]
	v_pk_fma_f32 v[8:9], v[52:53], v[62:63], v[8:9] op_sel_hi:[1,0,1]
	s_waitcnt vmcnt(1)
	v_cndmask_b32_e64 v36, v47, -v47, s[24:25]
	;; [unrolled: 3-line block ×3, first 2 shown]
	v_pk_fma_f32 v[8:9], v[26:27], v[10:11], v[8:9] op_sel:[1,0,0] op_sel_hi:[0,0,1] neg_lo:[1,0,0]
	v_pk_fma_f32 v[8:9], v[28:29], v[44:45], v[8:9] op_sel_hi:[1,0,1]
	s_nop 0
	v_pk_fma_f32 v[8:9], v[54:55], v[12:13], v[8:9] op_sel_hi:[1,0,1]
	s_nop 0
	;; [unrolled: 2-line block ×3, first 2 shown]
	v_pk_fma_f32 v[8:9], v[30:31], v[36:37], v[8:9] op_sel:[1,0,0] op_sel_hi:[0,0,1] neg_lo:[1,0,0]
	v_pk_fma_f32 v[8:9], v[32:33], v[48:49], v[8:9] op_sel_hi:[1,0,1]
	s_nop 0
	v_pk_fma_f32 v[8:9], v[56:57], v[58:59], v[8:9] op_sel_hi:[1,0,1]
	s_branch .LBB6_4
.LBB6_9:
	s_or_b64 exec, exec, s[18:19]
.LBB6_10:
	s_or_b64 exec, exec, s[28:29]
	v_cmp_gt_i32_e64 s[2:3], s26, v4
	s_and_b64 exec, exec, s[2:3]
	s_cbranch_execz .LBB6_21
; %bb.11:
	s_load_dwordx4 s[8:11], s[0:1], 0x60
	s_load_dwordx2 s[16:17], s[0:1], 0x70
	v_cmp_neq_f32_e64 s[0:1], 0, v2
	s_xor_b64 s[2:3], vcc, -1
	s_or_b64 s[18:19], s[0:1], s[2:3]
	s_waitcnt lgkmcnt(0)
	s_cmp_lg_u32 s12, 1
	s_mov_b64 s[6:7], -1
	s_cselect_b64 s[2:3], -1, 0
	s_mul_i32 s12, s16, s5
	s_mul_hi_u32 s13, s16, s4
	s_mul_i32 s14, s17, s4
	s_mul_i32 s0, s16, s4
	s_and_saveexec_b64 s[4:5], s[18:19]
	s_xor_b64 s[4:5], exec, s[4:5]
	s_cbranch_execz .LBB6_16
; %bb.12:
	v_xor_b32_e32 v0, 0x80000000, v7
	v_mov_b32_e32 v1, v6
	s_add_i32 s1, s13, s12
	v_pk_mul_f32 v[0:1], v[8:9], v[0:1] op_sel:[1,0]
	s_add_i32 s1, s1, s14
	v_pk_fma_f32 v[0:1], v[6:7], v[8:9], v[0:1] op_sel_hi:[1,0,1]
	s_and_b64 vcc, exec, s[2:3]
	s_cbranch_vccz .LBB6_14
; %bb.13:
	v_mad_u64_u32 v[6:7], s[6:7], s10, v14, 0
	v_mov_b32_e32 v8, v7
	v_mad_u64_u32 v[8:9], s[6:7], s11, v14, v[8:9]
	v_mov_b32_e32 v7, v8
	v_lshl_add_u64 v[6:7], v[6:7], 3, s[8:9]
	v_lshl_add_u64 v[6:7], v[4:5], 3, v[6:7]
	;; [unrolled: 1-line block ×3, first 2 shown]
	global_load_dwordx2 v[8:9], v[6:7], off
	v_xor_b32_e32 v10, 0x80000000, v3
	v_mov_b32_e32 v11, v2
	s_mov_b64 s[6:7], 0
	s_waitcnt vmcnt(0)
	v_pk_fma_f32 v[12:13], v[2:3], v[8:9], v[0:1] op_sel_hi:[1,0,1]
	s_nop 0
	v_pk_fma_f32 v[8:9], v[10:11], v[8:9], v[12:13] op_sel:[0,1,0]
	global_store_dwordx2 v[6:7], v[8:9], off
.LBB6_14:
	s_andn2_b64 vcc, exec, s[6:7]
                                        ; implicit-def: $vgpr6_vgpr7
                                        ; implicit-def: $vgpr8_vgpr9
	s_cbranch_vccnz .LBB6_16
; %bb.15:
	v_mul_lo_u32 v6, s11, v4
	v_mul_lo_u32 v7, s10, v5
	v_mad_u64_u32 v[4:5], s[6:7], s10, v4, 0
	v_add3_u32 v5, v5, v7, v6
	v_lshl_add_u64 v[4:5], v[4:5], 3, s[8:9]
	v_lshlrev_b32_e32 v6, 3, v14
	v_mov_b32_e32 v7, 0
	v_lshl_add_u64 v[4:5], v[4:5], 0, v[6:7]
	v_lshl_add_u64 v[4:5], s[0:1], 3, v[4:5]
	global_load_dwordx2 v[6:7], v[4:5], off
	v_xor_b32_e32 v8, 0x80000000, v3
	v_mov_b32_e32 v9, v2
                                        ; implicit-def: $vgpr14
	s_waitcnt vmcnt(0)
	v_pk_fma_f32 v[0:1], v[2:3], v[6:7], v[0:1] op_sel_hi:[1,0,1]
	s_nop 0
	v_pk_fma_f32 v[0:1], v[8:9], v[6:7], v[0:1] op_sel:[0,1,0]
	global_store_dwordx2 v[4:5], v[0:1], off
                                        ; implicit-def: $vgpr4_vgpr5
                                        ; implicit-def: $vgpr6_vgpr7
                                        ; implicit-def: $vgpr8_vgpr9
.LBB6_16:
	s_andn2_saveexec_b64 s[4:5], s[4:5]
	s_cbranch_execz .LBB6_21
; %bb.17:
	v_xor_b32_e32 v0, 0x80000000, v7
	v_mov_b32_e32 v1, v6
	v_pk_mul_f32 v[0:1], v[8:9], v[0:1] op_sel:[1,0]
	s_add_i32 s1, s13, s12
	v_pk_fma_f32 v[0:1], v[6:7], v[8:9], v[0:1] op_sel_hi:[1,0,1]
	s_add_i32 s1, s1, s14
	s_mov_b64 s[4:5], -1
	s_and_b64 vcc, exec, s[2:3]
	s_cbranch_vccz .LBB6_19
; %bb.18:
	v_mad_u64_u32 v[2:3], s[2:3], s10, v14, 0
	v_mov_b32_e32 v6, v3
	v_mad_u64_u32 v[6:7], s[2:3], s11, v14, v[6:7]
	v_mov_b32_e32 v3, v6
	v_lshl_add_u64 v[2:3], v[2:3], 3, s[8:9]
	v_lshl_add_u64 v[2:3], v[4:5], 3, v[2:3]
	;; [unrolled: 1-line block ×3, first 2 shown]
	global_store_dwordx2 v[2:3], v[0:1], off
	s_mov_b64 s[4:5], 0
.LBB6_19:
	s_andn2_b64 vcc, exec, s[4:5]
	s_cbranch_vccnz .LBB6_21
; %bb.20:
	v_mul_lo_u32 v6, s11, v4
	v_mul_lo_u32 v5, s10, v5
	v_mad_u64_u32 v[2:3], s[2:3], s10, v4, 0
	v_add3_u32 v3, v3, v5, v6
	v_lshl_add_u64 v[2:3], v[2:3], 3, s[8:9]
	v_lshlrev_b32_e32 v4, 3, v14
	v_mov_b32_e32 v5, 0
	v_lshl_add_u64 v[2:3], v[2:3], 0, v[4:5]
	v_lshl_add_u64 v[2:3], s[0:1], 3, v[2:3]
	global_store_dwordx2 v[2:3], v[0:1], off
.LBB6_21:
	s_endpgm
	.section	.rodata,"a",@progbits
	.p2align	6, 0x0
	.amdhsa_kernel _ZN9rocsparse31csrmmnn_row_split_shared_kernelILj256ELj8E21rocsparse_complex_numIfEiiS2_S2_S2_EEvNS_24const_host_device_scalarIT1_EES5_bbbT3_S6_llPKT2_PKS6_PKT4_PKT5_llPT6_ll16rocsparse_order_21rocsparse_index_base_
		.amdhsa_group_segment_fixed_size 3072
		.amdhsa_private_segment_fixed_size 0
		.amdhsa_kernarg_size 128
		.amdhsa_user_sgpr_count 2
		.amdhsa_user_sgpr_dispatch_ptr 0
		.amdhsa_user_sgpr_queue_ptr 0
		.amdhsa_user_sgpr_kernarg_segment_ptr 1
		.amdhsa_user_sgpr_dispatch_id 0
		.amdhsa_user_sgpr_kernarg_preload_length 0
		.amdhsa_user_sgpr_kernarg_preload_offset 0
		.amdhsa_user_sgpr_private_segment_size 0
		.amdhsa_uses_dynamic_stack 0
		.amdhsa_enable_private_segment 0
		.amdhsa_system_sgpr_workgroup_id_x 1
		.amdhsa_system_sgpr_workgroup_id_y 1
		.amdhsa_system_sgpr_workgroup_id_z 1
		.amdhsa_system_sgpr_workgroup_info 0
		.amdhsa_system_vgpr_workitem_id 0
		.amdhsa_next_free_vgpr 64
		.amdhsa_next_free_sgpr 31
		.amdhsa_accum_offset 64
		.amdhsa_reserve_vcc 1
		.amdhsa_float_round_mode_32 0
		.amdhsa_float_round_mode_16_64 0
		.amdhsa_float_denorm_mode_32 3
		.amdhsa_float_denorm_mode_16_64 3
		.amdhsa_dx10_clamp 1
		.amdhsa_ieee_mode 1
		.amdhsa_fp16_overflow 0
		.amdhsa_tg_split 0
		.amdhsa_exception_fp_ieee_invalid_op 0
		.amdhsa_exception_fp_denorm_src 0
		.amdhsa_exception_fp_ieee_div_zero 0
		.amdhsa_exception_fp_ieee_overflow 0
		.amdhsa_exception_fp_ieee_underflow 0
		.amdhsa_exception_fp_ieee_inexact 0
		.amdhsa_exception_int_div_zero 0
	.end_amdhsa_kernel
	.section	.text._ZN9rocsparse31csrmmnn_row_split_shared_kernelILj256ELj8E21rocsparse_complex_numIfEiiS2_S2_S2_EEvNS_24const_host_device_scalarIT1_EES5_bbbT3_S6_llPKT2_PKS6_PKT4_PKT5_llPT6_ll16rocsparse_order_21rocsparse_index_base_,"axG",@progbits,_ZN9rocsparse31csrmmnn_row_split_shared_kernelILj256ELj8E21rocsparse_complex_numIfEiiS2_S2_S2_EEvNS_24const_host_device_scalarIT1_EES5_bbbT3_S6_llPKT2_PKS6_PKT4_PKT5_llPT6_ll16rocsparse_order_21rocsparse_index_base_,comdat
.Lfunc_end6:
	.size	_ZN9rocsparse31csrmmnn_row_split_shared_kernelILj256ELj8E21rocsparse_complex_numIfEiiS2_S2_S2_EEvNS_24const_host_device_scalarIT1_EES5_bbbT3_S6_llPKT2_PKS6_PKT4_PKT5_llPT6_ll16rocsparse_order_21rocsparse_index_base_, .Lfunc_end6-_ZN9rocsparse31csrmmnn_row_split_shared_kernelILj256ELj8E21rocsparse_complex_numIfEiiS2_S2_S2_EEvNS_24const_host_device_scalarIT1_EES5_bbbT3_S6_llPKT2_PKS6_PKT4_PKT5_llPT6_ll16rocsparse_order_21rocsparse_index_base_
                                        ; -- End function
	.set _ZN9rocsparse31csrmmnn_row_split_shared_kernelILj256ELj8E21rocsparse_complex_numIfEiiS2_S2_S2_EEvNS_24const_host_device_scalarIT1_EES5_bbbT3_S6_llPKT2_PKS6_PKT4_PKT5_llPT6_ll16rocsparse_order_21rocsparse_index_base_.num_vgpr, 64
	.set _ZN9rocsparse31csrmmnn_row_split_shared_kernelILj256ELj8E21rocsparse_complex_numIfEiiS2_S2_S2_EEvNS_24const_host_device_scalarIT1_EES5_bbbT3_S6_llPKT2_PKS6_PKT4_PKT5_llPT6_ll16rocsparse_order_21rocsparse_index_base_.num_agpr, 0
	.set _ZN9rocsparse31csrmmnn_row_split_shared_kernelILj256ELj8E21rocsparse_complex_numIfEiiS2_S2_S2_EEvNS_24const_host_device_scalarIT1_EES5_bbbT3_S6_llPKT2_PKS6_PKT4_PKT5_llPT6_ll16rocsparse_order_21rocsparse_index_base_.numbered_sgpr, 31
	.set _ZN9rocsparse31csrmmnn_row_split_shared_kernelILj256ELj8E21rocsparse_complex_numIfEiiS2_S2_S2_EEvNS_24const_host_device_scalarIT1_EES5_bbbT3_S6_llPKT2_PKS6_PKT4_PKT5_llPT6_ll16rocsparse_order_21rocsparse_index_base_.num_named_barrier, 0
	.set _ZN9rocsparse31csrmmnn_row_split_shared_kernelILj256ELj8E21rocsparse_complex_numIfEiiS2_S2_S2_EEvNS_24const_host_device_scalarIT1_EES5_bbbT3_S6_llPKT2_PKS6_PKT4_PKT5_llPT6_ll16rocsparse_order_21rocsparse_index_base_.private_seg_size, 0
	.set _ZN9rocsparse31csrmmnn_row_split_shared_kernelILj256ELj8E21rocsparse_complex_numIfEiiS2_S2_S2_EEvNS_24const_host_device_scalarIT1_EES5_bbbT3_S6_llPKT2_PKS6_PKT4_PKT5_llPT6_ll16rocsparse_order_21rocsparse_index_base_.uses_vcc, 1
	.set _ZN9rocsparse31csrmmnn_row_split_shared_kernelILj256ELj8E21rocsparse_complex_numIfEiiS2_S2_S2_EEvNS_24const_host_device_scalarIT1_EES5_bbbT3_S6_llPKT2_PKS6_PKT4_PKT5_llPT6_ll16rocsparse_order_21rocsparse_index_base_.uses_flat_scratch, 0
	.set _ZN9rocsparse31csrmmnn_row_split_shared_kernelILj256ELj8E21rocsparse_complex_numIfEiiS2_S2_S2_EEvNS_24const_host_device_scalarIT1_EES5_bbbT3_S6_llPKT2_PKS6_PKT4_PKT5_llPT6_ll16rocsparse_order_21rocsparse_index_base_.has_dyn_sized_stack, 0
	.set _ZN9rocsparse31csrmmnn_row_split_shared_kernelILj256ELj8E21rocsparse_complex_numIfEiiS2_S2_S2_EEvNS_24const_host_device_scalarIT1_EES5_bbbT3_S6_llPKT2_PKS6_PKT4_PKT5_llPT6_ll16rocsparse_order_21rocsparse_index_base_.has_recursion, 0
	.set _ZN9rocsparse31csrmmnn_row_split_shared_kernelILj256ELj8E21rocsparse_complex_numIfEiiS2_S2_S2_EEvNS_24const_host_device_scalarIT1_EES5_bbbT3_S6_llPKT2_PKS6_PKT4_PKT5_llPT6_ll16rocsparse_order_21rocsparse_index_base_.has_indirect_call, 0
	.section	.AMDGPU.csdata,"",@progbits
; Kernel info:
; codeLenInByte = 1784
; TotalNumSgprs: 37
; NumVgprs: 64
; NumAgprs: 0
; TotalNumVgprs: 64
; ScratchSize: 0
; MemoryBound: 0
; FloatMode: 240
; IeeeMode: 1
; LDSByteSize: 3072 bytes/workgroup (compile time only)
; SGPRBlocks: 4
; VGPRBlocks: 7
; NumSGPRsForWavesPerEU: 37
; NumVGPRsForWavesPerEU: 64
; AccumOffset: 64
; Occupancy: 8
; WaveLimiterHint : 1
; COMPUTE_PGM_RSRC2:SCRATCH_EN: 0
; COMPUTE_PGM_RSRC2:USER_SGPR: 2
; COMPUTE_PGM_RSRC2:TRAP_HANDLER: 0
; COMPUTE_PGM_RSRC2:TGID_X_EN: 1
; COMPUTE_PGM_RSRC2:TGID_Y_EN: 1
; COMPUTE_PGM_RSRC2:TGID_Z_EN: 1
; COMPUTE_PGM_RSRC2:TIDIG_COMP_CNT: 0
; COMPUTE_PGM_RSRC3_GFX90A:ACCUM_OFFSET: 15
; COMPUTE_PGM_RSRC3_GFX90A:TG_SPLIT: 0
	.section	.text._ZN9rocsparse31csrmmnn_row_split_shared_kernelILj256ELj8E21rocsparse_complex_numIfEliS2_S2_S2_EEvNS_24const_host_device_scalarIT1_EES5_bbbT3_S6_llPKT2_PKS6_PKT4_PKT5_llPT6_ll16rocsparse_order_21rocsparse_index_base_,"axG",@progbits,_ZN9rocsparse31csrmmnn_row_split_shared_kernelILj256ELj8E21rocsparse_complex_numIfEliS2_S2_S2_EEvNS_24const_host_device_scalarIT1_EES5_bbbT3_S6_llPKT2_PKS6_PKT4_PKT5_llPT6_ll16rocsparse_order_21rocsparse_index_base_,comdat
	.protected	_ZN9rocsparse31csrmmnn_row_split_shared_kernelILj256ELj8E21rocsparse_complex_numIfEliS2_S2_S2_EEvNS_24const_host_device_scalarIT1_EES5_bbbT3_S6_llPKT2_PKS6_PKT4_PKT5_llPT6_ll16rocsparse_order_21rocsparse_index_base_ ; -- Begin function _ZN9rocsparse31csrmmnn_row_split_shared_kernelILj256ELj8E21rocsparse_complex_numIfEliS2_S2_S2_EEvNS_24const_host_device_scalarIT1_EES5_bbbT3_S6_llPKT2_PKS6_PKT4_PKT5_llPT6_ll16rocsparse_order_21rocsparse_index_base_
	.globl	_ZN9rocsparse31csrmmnn_row_split_shared_kernelILj256ELj8E21rocsparse_complex_numIfEliS2_S2_S2_EEvNS_24const_host_device_scalarIT1_EES5_bbbT3_S6_llPKT2_PKS6_PKT4_PKT5_llPT6_ll16rocsparse_order_21rocsparse_index_base_
	.p2align	8
	.type	_ZN9rocsparse31csrmmnn_row_split_shared_kernelILj256ELj8E21rocsparse_complex_numIfEliS2_S2_S2_EEvNS_24const_host_device_scalarIT1_EES5_bbbT3_S6_llPKT2_PKS6_PKT4_PKT5_llPT6_ll16rocsparse_order_21rocsparse_index_base_,@function
_ZN9rocsparse31csrmmnn_row_split_shared_kernelILj256ELj8E21rocsparse_complex_numIfEliS2_S2_S2_EEvNS_24const_host_device_scalarIT1_EES5_bbbT3_S6_llPKT2_PKS6_PKT4_PKT5_llPT6_ll16rocsparse_order_21rocsparse_index_base_: ; @_ZN9rocsparse31csrmmnn_row_split_shared_kernelILj256ELj8E21rocsparse_complex_numIfEliS2_S2_S2_EEvNS_24const_host_device_scalarIT1_EES5_bbbT3_S6_llPKT2_PKS6_PKT4_PKT5_llPT6_ll16rocsparse_order_21rocsparse_index_base_
; %bb.0:
	s_load_dword s30, s[0:1], 0x10
	s_load_dwordx4 s[8:11], s[0:1], 0x0
	s_or_b32 s5, s0, 8
	s_waitcnt lgkmcnt(0)
	s_bitcmp1_b32 s30, 0
	s_cselect_b32 s6, s1, s9
	s_cselect_b32 s7, s0, s8
	v_mov_b32_e32 v2, s7
	v_mov_b32_e32 v3, s6
	s_cselect_b32 s6, s1, s11
	s_cselect_b32 s5, s5, s10
	flat_load_dwordx2 v[12:13], v[2:3]
	v_mov_b32_e32 v2, s5
	v_mov_b32_e32 v3, s6
	flat_load_dwordx2 v[8:9], v[2:3]
	s_waitcnt vmcnt(0) lgkmcnt(0)
	v_cmp_eq_f32_e64 s[6:7], 0, v12
	v_cmp_eq_f32_e64 s[8:9], 0, v13
	s_and_b64 s[6:7], s[6:7], s[8:9]
	v_cmp_eq_f32_e64 s[10:11], 1.0, v8
	v_cmp_eq_f32_e32 vcc, 0, v9
	s_and_b64 s[8:9], s[10:11], vcc
	s_and_b64 s[6:7], s[6:7], s[8:9]
	s_xor_b64 s[6:7], s[6:7], -1
	s_and_saveexec_b64 s[8:9], s[6:7]
	s_cbranch_execz .LBB7_21
; %bb.1:
	s_load_dwordx4 s[24:27], s[0:1], 0x10
	v_lshl_or_b32 v1, s2, 8, v0
	v_lshrrev_b32_e32 v7, 3, v1
	s_waitcnt lgkmcnt(0)
	v_cmp_gt_i32_e64 s[6:7], s25, v7
	s_and_b64 exec, exec, s[6:7]
	s_cbranch_execz .LBB7_21
; %bb.2:
	s_load_dwordx16 s[8:23], s[0:1], 0x20
	s_ashr_i32 s5, s4, 31
	v_lshlrev_b32_e32 v6, 3, v7
	v_and_b32_e32 v14, 7, v0
	v_mov_b32_e32 v17, 0
	s_waitcnt lgkmcnt(0)
	s_mul_hi_u32 s2, s8, s4
	s_mul_i32 s7, s8, s5
	s_mul_i32 s9, s9, s4
	s_add_i32 s2, s2, s7
	s_mul_i32 s6, s8, s4
	s_add_i32 s7, s2, s9
	s_lshl_b64 s[6:7], s[6:7], 3
	s_add_u32 s6, s12, s6
	s_addc_u32 s7, s13, s7
	global_load_dwordx4 v[2:5], v6, s[6:7]
	s_load_dwordx2 s[12:13], s[0:1], 0x78
	v_lshl_or_b32 v10, s3, 3, v14
	v_ashrrev_i32_e32 v11, 31, v10
	v_mov_b32_e32 v16, v17
	s_waitcnt vmcnt(0)
	v_cmp_lt_i64_e64 s[2:3], v[2:3], v[4:5]
	s_and_saveexec_b64 s[28:29], s[2:3]
	s_cbranch_execz .LBB7_10
; %bb.3:
	s_waitcnt lgkmcnt(0)
	v_subrev_co_u32_e64 v4, s[2:3], s13, v4
	v_lshrrev_b32_e32 v25, 3, v0
	s_nop 0
	v_subbrev_co_u32_e64 v5, s[2:3], 0, v5, s[2:3]
	s_bitcmp1_b32 s30, 8
	v_subrev_co_u32_e64 v0, s[6:7], s13, v2
	s_cselect_b64 s[2:3], -1, 0
	s_bitcmp1_b32 s24, 16
	v_subbrev_co_u32_e64 v1, s[6:7], 0, v3, s[6:7]
	v_mul_lo_u32 v15, s21, v10
	v_mul_lo_u32 v24, s20, v11
	v_mad_u64_u32 v[22:23], s[6:7], s20, v10, 0
	s_mul_i32 s8, s22, s5
	s_mul_hi_u32 s9, s22, s4
	s_cselect_b64 s[24:25], -1, 0
	v_mov_b32_e32 v18, s18
	v_mov_b32_e32 v19, s19
	v_add3_u32 v23, v23, v24, v15
	s_add_i32 s8, s9, s8
	s_mul_i32 s9, s23, s4
	s_add_i32 s9, s8, s9
	s_mul_i32 s8, s22, s4
	v_lshl_add_u64 v[18:19], v[22:23], 3, v[18:19]
	v_lshl_add_u64 v[18:19], s[8:9], 3, v[18:19]
	s_mul_i32 s8, s11, s4
	s_mul_i32 s9, s10, s5
	v_mov_b32_e32 v22, s4
	s_add_i32 s11, s9, s8
	v_mad_u64_u32 v[2:3], s[8:9], s10, v22, v[2:3]
	v_mov_b32_e32 v15, 0
	v_add_u32_e32 v3, s11, v3
	v_lshl_add_u64 v[2:3], v[2:3], 0, v[14:15]
	v_subrev_co_u32_e64 v22, s[8:9], s13, v2
	v_mov_b32_e32 v16, s14
	v_mov_b32_e32 v17, s15
	;; [unrolled: 1-line block ×5, first 2 shown]
	v_subbrev_co_u32_e64 v23, s[8:9], 0, v3, s[8:9]
	v_lshl_or_b32 v24, v25, 5, v24
	v_lshlrev_b32_e32 v25, 6, v25
	v_lshl_add_u64 v[2:3], v[22:23], 2, v[16:17]
	v_lshl_add_u64 v[16:17], v[22:23], 3, v[20:21]
	v_lshl_or_b32 v26, v14, 3, v25
	v_cmp_gt_i32_e64 s[6:7], s26, v10
	v_lshl_add_u64 v[20:21], v[16:17], 0, 4
	s_mov_b64 s[10:11], 0
	v_mov_b32_e32 v16, v15
	v_mov_b32_e32 v17, v15
	s_branch .LBB7_5
.LBB7_4:                                ;   in Loop: Header=BB7_5 Depth=1
	s_or_b64 exec, exec, s[8:9]
	v_lshl_add_u64 v[0:1], v[0:1], 0, 8
	v_cmp_ge_i64_e64 s[8:9], v[0:1], v[4:5]
	v_lshl_add_u64 v[2:3], v[2:3], 0, 32
	s_or_b64 s[10:11], s[8:9], s[10:11]
	v_lshl_add_u64 v[20:21], v[20:21], 0, 64
	s_andn2_b64 exec, exec, s[10:11]
	s_cbranch_execz .LBB7_9
.LBB7_5:                                ; =>This Inner Loop Header: Depth=1
	v_lshl_add_u64 v[22:23], v[14:15], 0, v[0:1]
	v_cmp_lt_i64_e64 s[8:9], v[22:23], v[4:5]
	v_mov_b32_e32 v27, 0
	v_mov_b32_e32 v22, 0
	;; [unrolled: 1-line block ×3, first 2 shown]
	s_barrier
	s_and_saveexec_b64 s[14:15], s[8:9]
	s_cbranch_execz .LBB7_7
; %bb.6:                                ;   in Loop: Header=BB7_5 Depth=1
	global_load_dword v27, v[2:3], off
	global_load_dwordx2 v[22:23], v[20:21], off offset:-4
	s_waitcnt vmcnt(1)
	v_subrev_u32_e32 v27, s13, v27
	s_waitcnt vmcnt(0)
	v_xor_b32_e32 v28, 0x80000000, v23
	v_cndmask_b32_e64 v23, v23, v28, s[2:3]
.LBB7_7:                                ;   in Loop: Header=BB7_5 Depth=1
	s_or_b64 exec, exec, s[14:15]
	v_lshl_or_b32 v28, v14, 2, v24
	ds_write_b32 v28, v27
	ds_write_b64 v26, v[22:23]
	s_waitcnt lgkmcnt(0)
	s_barrier
	s_and_saveexec_b64 s[8:9], s[6:7]
	s_cbranch_execz .LBB7_4
; %bb.8:                                ;   in Loop: Header=BB7_5 Depth=1
	ds_read_b128 v[28:31], v24
	ds_read_b128 v[32:35], v24 offset:16
	s_waitcnt lgkmcnt(1)
	v_ashrrev_i32_e32 v23, 31, v28
	v_mov_b32_e32 v22, v28
	v_ashrrev_i32_e32 v37, 31, v29
	v_mov_b32_e32 v36, v29
	v_lshl_add_u64 v[22:23], v[22:23], 3, v[18:19]
	v_lshl_add_u64 v[28:29], v[36:37], 3, v[18:19]
	v_ashrrev_i32_e32 v37, 31, v30
	v_mov_b32_e32 v36, v30
	v_ashrrev_i32_e32 v39, 31, v31
	v_mov_b32_e32 v38, v31
	v_lshl_add_u64 v[36:37], v[36:37], 3, v[18:19]
	v_lshl_add_u64 v[30:31], v[38:39], 3, v[18:19]
	global_load_dwordx2 v[44:45], v[22:23], off
	global_load_dwordx2 v[46:47], v[28:29], off
	;; [unrolled: 1-line block ×4, first 2 shown]
	s_waitcnt lgkmcnt(0)
	v_ashrrev_i32_e32 v23, 31, v32
	v_mov_b32_e32 v22, v32
	v_lshl_add_u64 v[22:23], v[22:23], 3, v[18:19]
	v_ashrrev_i32_e32 v29, 31, v33
	v_mov_b32_e32 v28, v33
	v_ashrrev_i32_e32 v31, 31, v34
	v_mov_b32_e32 v30, v34
	v_ashrrev_i32_e32 v33, 31, v35
	v_mov_b32_e32 v32, v35
	v_lshl_add_u64 v[28:29], v[28:29], 3, v[18:19]
	v_lshl_add_u64 v[30:31], v[30:31], 3, v[18:19]
	;; [unrolled: 1-line block ×3, first 2 shown]
	global_load_dwordx2 v[52:53], v[22:23], off
	global_load_dwordx2 v[54:55], v[28:29], off
	;; [unrolled: 1-line block ×4, first 2 shown]
	ds_read_b128 v[28:31], v25
	ds_read_b128 v[32:35], v25 offset:16
	ds_read_b128 v[36:39], v25 offset:32
	;; [unrolled: 1-line block ×3, first 2 shown]
	s_waitcnt lgkmcnt(3)
	v_xor_b32_e32 v22, 0x80000000, v31
	v_mov_b32_e32 v23, v30
	s_waitcnt lgkmcnt(2)
	v_xor_b32_e32 v60, 0x80000000, v35
	v_mov_b32_e32 v61, v34
	;; [unrolled: 3-line block ×4, first 2 shown]
	s_waitcnt vmcnt(7)
	v_cndmask_b32_e64 v66, v45, -v45, s[24:25]
	v_pk_fma_f32 v[16:17], v[28:29], v[44:45], v[16:17] op_sel_hi:[1,0,1]
	s_waitcnt vmcnt(6)
	v_cndmask_b32_e64 v68, v47, -v47, s[24:25]
	v_pk_fma_f32 v[16:17], v[28:29], v[66:67], v[16:17] op_sel:[1,0,0] op_sel_hi:[0,0,1] neg_lo:[1,0,0]
	v_pk_fma_f32 v[16:17], v[30:31], v[46:47], v[16:17] op_sel_hi:[1,0,1]
	s_waitcnt vmcnt(5)
	v_cndmask_b32_e64 v44, v49, -v49, s[24:25]
	v_pk_fma_f32 v[16:17], v[22:23], v[68:69], v[16:17] op_sel_hi:[1,0,1]
	s_waitcnt vmcnt(4)
	v_cndmask_b32_e64 v70, v51, -v51, s[24:25]
	;; [unrolled: 3-line block ×3, first 2 shown]
	v_pk_fma_f32 v[16:17], v[32:33], v[44:45], v[16:17] op_sel:[1,0,0] op_sel_hi:[0,0,1] neg_lo:[1,0,0]
	v_pk_fma_f32 v[16:17], v[34:35], v[50:51], v[16:17] op_sel_hi:[1,0,1]
	s_waitcnt vmcnt(2)
	v_cndmask_b32_e64 v74, v55, -v55, s[24:25]
	v_pk_fma_f32 v[16:17], v[60:61], v[70:71], v[16:17] op_sel_hi:[1,0,1]
	s_waitcnt vmcnt(1)
	v_cndmask_b32_e64 v76, v57, -v57, s[24:25]
	v_pk_fma_f32 v[16:17], v[36:37], v[52:53], v[16:17] op_sel_hi:[1,0,1]
	s_waitcnt vmcnt(0)
	v_cndmask_b32_e64 v78, v59, -v59, s[24:25]
	v_pk_fma_f32 v[16:17], v[36:37], v[72:73], v[16:17] op_sel:[1,0,0] op_sel_hi:[0,0,1] neg_lo:[1,0,0]
	v_pk_fma_f32 v[16:17], v[38:39], v[54:55], v[16:17] op_sel_hi:[1,0,1]
	s_nop 0
	v_pk_fma_f32 v[16:17], v[62:63], v[74:75], v[16:17] op_sel_hi:[1,0,1]
	s_nop 0
	;; [unrolled: 2-line block ×3, first 2 shown]
	v_pk_fma_f32 v[16:17], v[40:41], v[76:77], v[16:17] op_sel:[1,0,0] op_sel_hi:[0,0,1] neg_lo:[1,0,0]
	v_pk_fma_f32 v[16:17], v[42:43], v[58:59], v[16:17] op_sel_hi:[1,0,1]
	s_nop 0
	v_pk_fma_f32 v[16:17], v[64:65], v[78:79], v[16:17] op_sel_hi:[1,0,1]
	s_branch .LBB7_4
.LBB7_9:
	s_or_b64 exec, exec, s[10:11]
.LBB7_10:
	s_or_b64 exec, exec, s[28:29]
	v_cmp_gt_i32_e64 s[2:3], s26, v10
	s_and_b64 exec, exec, s[2:3]
	s_cbranch_execz .LBB7_21
; %bb.11:
	s_load_dwordx4 s[8:11], s[0:1], 0x60
	s_load_dwordx2 s[16:17], s[0:1], 0x70
	v_cmp_neq_f32_e64 s[0:1], 0, v8
	s_xor_b64 s[2:3], vcc, -1
	s_or_b64 s[18:19], s[0:1], s[2:3]
	s_waitcnt lgkmcnt(0)
	s_cmp_lg_u32 s12, 1
	s_mov_b64 s[6:7], -1
	s_cselect_b64 s[2:3], -1, 0
	s_mul_i32 s12, s16, s5
	s_mul_hi_u32 s13, s16, s4
	s_mul_i32 s14, s17, s4
	s_mul_i32 s0, s16, s4
	s_and_saveexec_b64 s[4:5], s[18:19]
	s_xor_b64 s[4:5], exec, s[4:5]
	s_cbranch_execz .LBB7_16
; %bb.12:
	v_xor_b32_e32 v0, 0x80000000, v13
	v_mov_b32_e32 v1, v12
	s_add_i32 s1, s13, s12
	v_pk_mul_f32 v[0:1], v[16:17], v[0:1] op_sel:[1,0]
	s_add_i32 s1, s1, s14
	v_pk_fma_f32 v[0:1], v[12:13], v[16:17], v[0:1] op_sel_hi:[1,0,1]
	s_and_b64 vcc, exec, s[2:3]
	s_cbranch_vccz .LBB7_14
; %bb.13:
	v_mad_u64_u32 v[2:3], s[6:7], s10, v7, 0
	v_mov_b32_e32 v4, v3
	v_mad_u64_u32 v[4:5], s[6:7], s11, v7, v[4:5]
	v_mov_b32_e32 v3, v4
	v_lshl_add_u64 v[2:3], v[2:3], 3, s[8:9]
	v_lshl_add_u64 v[2:3], v[10:11], 3, v[2:3]
	;; [unrolled: 1-line block ×3, first 2 shown]
	global_load_dwordx2 v[4:5], v[2:3], off
	v_xor_b32_e32 v12, 0x80000000, v9
	v_mov_b32_e32 v13, v8
	s_mov_b64 s[6:7], 0
	s_waitcnt vmcnt(0)
	v_pk_fma_f32 v[14:15], v[8:9], v[4:5], v[0:1] op_sel_hi:[1,0,1]
	s_nop 0
	v_pk_fma_f32 v[4:5], v[12:13], v[4:5], v[14:15] op_sel:[0,1,0]
	global_store_dwordx2 v[2:3], v[4:5], off
.LBB7_14:
	s_andn2_b64 vcc, exec, s[6:7]
                                        ; implicit-def: $vgpr12_vgpr13
                                        ; implicit-def: $vgpr16_vgpr17
                                        ; implicit-def: $vgpr7
	s_cbranch_vccnz .LBB7_16
; %bb.15:
	v_mul_lo_u32 v4, s11, v10
	v_mul_lo_u32 v5, s10, v11
	v_mad_u64_u32 v[2:3], s[6:7], s10, v10, 0
	v_add3_u32 v3, v3, v5, v4
	v_lshl_add_u64 v[2:3], v[2:3], 3, s[8:9]
	v_mov_b32_e32 v7, 0
	v_lshl_add_u64 v[2:3], v[2:3], 0, v[6:7]
	v_lshl_add_u64 v[2:3], s[0:1], 3, v[2:3]
	global_load_dwordx2 v[4:5], v[2:3], off
	v_xor_b32_e32 v6, 0x80000000, v9
	v_mov_b32_e32 v7, v8
                                        ; implicit-def: $vgpr10_vgpr11
                                        ; implicit-def: $vgpr12_vgpr13
                                        ; implicit-def: $vgpr16_vgpr17
	s_waitcnt vmcnt(0)
	v_pk_fma_f32 v[0:1], v[8:9], v[4:5], v[0:1] op_sel_hi:[1,0,1]
	s_nop 0
	v_pk_fma_f32 v[0:1], v[6:7], v[4:5], v[0:1] op_sel:[0,1,0]
	global_store_dwordx2 v[2:3], v[0:1], off
                                        ; implicit-def: $vgpr6
                                        ; implicit-def: $vgpr7
.LBB7_16:
	s_andn2_saveexec_b64 s[4:5], s[4:5]
	s_cbranch_execz .LBB7_21
; %bb.17:
	v_xor_b32_e32 v0, 0x80000000, v13
	v_mov_b32_e32 v1, v12
	v_pk_mul_f32 v[0:1], v[16:17], v[0:1] op_sel:[1,0]
	s_add_i32 s1, s13, s12
	v_pk_fma_f32 v[0:1], v[12:13], v[16:17], v[0:1] op_sel_hi:[1,0,1]
	s_add_i32 s1, s1, s14
	s_mov_b64 s[4:5], -1
	s_and_b64 vcc, exec, s[2:3]
	s_cbranch_vccz .LBB7_19
; %bb.18:
	v_mad_u64_u32 v[2:3], s[2:3], s10, v7, 0
	v_mov_b32_e32 v4, v3
	v_mad_u64_u32 v[4:5], s[2:3], s11, v7, v[4:5]
	v_mov_b32_e32 v3, v4
	v_lshl_add_u64 v[2:3], v[2:3], 3, s[8:9]
	v_lshl_add_u64 v[2:3], v[10:11], 3, v[2:3]
	v_lshl_add_u64 v[2:3], s[0:1], 3, v[2:3]
	global_store_dwordx2 v[2:3], v[0:1], off
	s_mov_b64 s[4:5], 0
.LBB7_19:
	s_andn2_b64 vcc, exec, s[4:5]
	s_cbranch_vccnz .LBB7_21
; %bb.20:
	v_mul_lo_u32 v4, s11, v10
	v_mul_lo_u32 v5, s10, v11
	v_mad_u64_u32 v[2:3], s[2:3], s10, v10, 0
	v_add3_u32 v3, v3, v5, v4
	v_lshl_add_u64 v[2:3], v[2:3], 3, s[8:9]
	v_mov_b32_e32 v7, 0
	v_lshl_add_u64 v[2:3], v[2:3], 0, v[6:7]
	v_lshl_add_u64 v[2:3], s[0:1], 3, v[2:3]
	global_store_dwordx2 v[2:3], v[0:1], off
.LBB7_21:
	s_endpgm
	.section	.rodata,"a",@progbits
	.p2align	6, 0x0
	.amdhsa_kernel _ZN9rocsparse31csrmmnn_row_split_shared_kernelILj256ELj8E21rocsparse_complex_numIfEliS2_S2_S2_EEvNS_24const_host_device_scalarIT1_EES5_bbbT3_S6_llPKT2_PKS6_PKT4_PKT5_llPT6_ll16rocsparse_order_21rocsparse_index_base_
		.amdhsa_group_segment_fixed_size 3072
		.amdhsa_private_segment_fixed_size 0
		.amdhsa_kernarg_size 128
		.amdhsa_user_sgpr_count 2
		.amdhsa_user_sgpr_dispatch_ptr 0
		.amdhsa_user_sgpr_queue_ptr 0
		.amdhsa_user_sgpr_kernarg_segment_ptr 1
		.amdhsa_user_sgpr_dispatch_id 0
		.amdhsa_user_sgpr_kernarg_preload_length 0
		.amdhsa_user_sgpr_kernarg_preload_offset 0
		.amdhsa_user_sgpr_private_segment_size 0
		.amdhsa_uses_dynamic_stack 0
		.amdhsa_enable_private_segment 0
		.amdhsa_system_sgpr_workgroup_id_x 1
		.amdhsa_system_sgpr_workgroup_id_y 1
		.amdhsa_system_sgpr_workgroup_id_z 1
		.amdhsa_system_sgpr_workgroup_info 0
		.amdhsa_system_vgpr_workitem_id 0
		.amdhsa_next_free_vgpr 80
		.amdhsa_next_free_sgpr 31
		.amdhsa_accum_offset 80
		.amdhsa_reserve_vcc 1
		.amdhsa_float_round_mode_32 0
		.amdhsa_float_round_mode_16_64 0
		.amdhsa_float_denorm_mode_32 3
		.amdhsa_float_denorm_mode_16_64 3
		.amdhsa_dx10_clamp 1
		.amdhsa_ieee_mode 1
		.amdhsa_fp16_overflow 0
		.amdhsa_tg_split 0
		.amdhsa_exception_fp_ieee_invalid_op 0
		.amdhsa_exception_fp_denorm_src 0
		.amdhsa_exception_fp_ieee_div_zero 0
		.amdhsa_exception_fp_ieee_overflow 0
		.amdhsa_exception_fp_ieee_underflow 0
		.amdhsa_exception_fp_ieee_inexact 0
		.amdhsa_exception_int_div_zero 0
	.end_amdhsa_kernel
	.section	.text._ZN9rocsparse31csrmmnn_row_split_shared_kernelILj256ELj8E21rocsparse_complex_numIfEliS2_S2_S2_EEvNS_24const_host_device_scalarIT1_EES5_bbbT3_S6_llPKT2_PKS6_PKT4_PKT5_llPT6_ll16rocsparse_order_21rocsparse_index_base_,"axG",@progbits,_ZN9rocsparse31csrmmnn_row_split_shared_kernelILj256ELj8E21rocsparse_complex_numIfEliS2_S2_S2_EEvNS_24const_host_device_scalarIT1_EES5_bbbT3_S6_llPKT2_PKS6_PKT4_PKT5_llPT6_ll16rocsparse_order_21rocsparse_index_base_,comdat
.Lfunc_end7:
	.size	_ZN9rocsparse31csrmmnn_row_split_shared_kernelILj256ELj8E21rocsparse_complex_numIfEliS2_S2_S2_EEvNS_24const_host_device_scalarIT1_EES5_bbbT3_S6_llPKT2_PKS6_PKT4_PKT5_llPT6_ll16rocsparse_order_21rocsparse_index_base_, .Lfunc_end7-_ZN9rocsparse31csrmmnn_row_split_shared_kernelILj256ELj8E21rocsparse_complex_numIfEliS2_S2_S2_EEvNS_24const_host_device_scalarIT1_EES5_bbbT3_S6_llPKT2_PKS6_PKT4_PKT5_llPT6_ll16rocsparse_order_21rocsparse_index_base_
                                        ; -- End function
	.set _ZN9rocsparse31csrmmnn_row_split_shared_kernelILj256ELj8E21rocsparse_complex_numIfEliS2_S2_S2_EEvNS_24const_host_device_scalarIT1_EES5_bbbT3_S6_llPKT2_PKS6_PKT4_PKT5_llPT6_ll16rocsparse_order_21rocsparse_index_base_.num_vgpr, 80
	.set _ZN9rocsparse31csrmmnn_row_split_shared_kernelILj256ELj8E21rocsparse_complex_numIfEliS2_S2_S2_EEvNS_24const_host_device_scalarIT1_EES5_bbbT3_S6_llPKT2_PKS6_PKT4_PKT5_llPT6_ll16rocsparse_order_21rocsparse_index_base_.num_agpr, 0
	.set _ZN9rocsparse31csrmmnn_row_split_shared_kernelILj256ELj8E21rocsparse_complex_numIfEliS2_S2_S2_EEvNS_24const_host_device_scalarIT1_EES5_bbbT3_S6_llPKT2_PKS6_PKT4_PKT5_llPT6_ll16rocsparse_order_21rocsparse_index_base_.numbered_sgpr, 31
	.set _ZN9rocsparse31csrmmnn_row_split_shared_kernelILj256ELj8E21rocsparse_complex_numIfEliS2_S2_S2_EEvNS_24const_host_device_scalarIT1_EES5_bbbT3_S6_llPKT2_PKS6_PKT4_PKT5_llPT6_ll16rocsparse_order_21rocsparse_index_base_.num_named_barrier, 0
	.set _ZN9rocsparse31csrmmnn_row_split_shared_kernelILj256ELj8E21rocsparse_complex_numIfEliS2_S2_S2_EEvNS_24const_host_device_scalarIT1_EES5_bbbT3_S6_llPKT2_PKS6_PKT4_PKT5_llPT6_ll16rocsparse_order_21rocsparse_index_base_.private_seg_size, 0
	.set _ZN9rocsparse31csrmmnn_row_split_shared_kernelILj256ELj8E21rocsparse_complex_numIfEliS2_S2_S2_EEvNS_24const_host_device_scalarIT1_EES5_bbbT3_S6_llPKT2_PKS6_PKT4_PKT5_llPT6_ll16rocsparse_order_21rocsparse_index_base_.uses_vcc, 1
	.set _ZN9rocsparse31csrmmnn_row_split_shared_kernelILj256ELj8E21rocsparse_complex_numIfEliS2_S2_S2_EEvNS_24const_host_device_scalarIT1_EES5_bbbT3_S6_llPKT2_PKS6_PKT4_PKT5_llPT6_ll16rocsparse_order_21rocsparse_index_base_.uses_flat_scratch, 0
	.set _ZN9rocsparse31csrmmnn_row_split_shared_kernelILj256ELj8E21rocsparse_complex_numIfEliS2_S2_S2_EEvNS_24const_host_device_scalarIT1_EES5_bbbT3_S6_llPKT2_PKS6_PKT4_PKT5_llPT6_ll16rocsparse_order_21rocsparse_index_base_.has_dyn_sized_stack, 0
	.set _ZN9rocsparse31csrmmnn_row_split_shared_kernelILj256ELj8E21rocsparse_complex_numIfEliS2_S2_S2_EEvNS_24const_host_device_scalarIT1_EES5_bbbT3_S6_llPKT2_PKS6_PKT4_PKT5_llPT6_ll16rocsparse_order_21rocsparse_index_base_.has_recursion, 0
	.set _ZN9rocsparse31csrmmnn_row_split_shared_kernelILj256ELj8E21rocsparse_complex_numIfEliS2_S2_S2_EEvNS_24const_host_device_scalarIT1_EES5_bbbT3_S6_llPKT2_PKS6_PKT4_PKT5_llPT6_ll16rocsparse_order_21rocsparse_index_base_.has_indirect_call, 0
	.section	.AMDGPU.csdata,"",@progbits
; Kernel info:
; codeLenInByte = 1872
; TotalNumSgprs: 37
; NumVgprs: 80
; NumAgprs: 0
; TotalNumVgprs: 80
; ScratchSize: 0
; MemoryBound: 0
; FloatMode: 240
; IeeeMode: 1
; LDSByteSize: 3072 bytes/workgroup (compile time only)
; SGPRBlocks: 4
; VGPRBlocks: 9
; NumSGPRsForWavesPerEU: 37
; NumVGPRsForWavesPerEU: 80
; AccumOffset: 80
; Occupancy: 6
; WaveLimiterHint : 1
; COMPUTE_PGM_RSRC2:SCRATCH_EN: 0
; COMPUTE_PGM_RSRC2:USER_SGPR: 2
; COMPUTE_PGM_RSRC2:TRAP_HANDLER: 0
; COMPUTE_PGM_RSRC2:TGID_X_EN: 1
; COMPUTE_PGM_RSRC2:TGID_Y_EN: 1
; COMPUTE_PGM_RSRC2:TGID_Z_EN: 1
; COMPUTE_PGM_RSRC2:TIDIG_COMP_CNT: 0
; COMPUTE_PGM_RSRC3_GFX90A:ACCUM_OFFSET: 19
; COMPUTE_PGM_RSRC3_GFX90A:TG_SPLIT: 0
	.section	.text._ZN9rocsparse31csrmmnn_row_split_shared_kernelILj256ELj8E21rocsparse_complex_numIfEllS2_S2_S2_EEvNS_24const_host_device_scalarIT1_EES5_bbbT3_S6_llPKT2_PKS6_PKT4_PKT5_llPT6_ll16rocsparse_order_21rocsparse_index_base_,"axG",@progbits,_ZN9rocsparse31csrmmnn_row_split_shared_kernelILj256ELj8E21rocsparse_complex_numIfEllS2_S2_S2_EEvNS_24const_host_device_scalarIT1_EES5_bbbT3_S6_llPKT2_PKS6_PKT4_PKT5_llPT6_ll16rocsparse_order_21rocsparse_index_base_,comdat
	.protected	_ZN9rocsparse31csrmmnn_row_split_shared_kernelILj256ELj8E21rocsparse_complex_numIfEllS2_S2_S2_EEvNS_24const_host_device_scalarIT1_EES5_bbbT3_S6_llPKT2_PKS6_PKT4_PKT5_llPT6_ll16rocsparse_order_21rocsparse_index_base_ ; -- Begin function _ZN9rocsparse31csrmmnn_row_split_shared_kernelILj256ELj8E21rocsparse_complex_numIfEllS2_S2_S2_EEvNS_24const_host_device_scalarIT1_EES5_bbbT3_S6_llPKT2_PKS6_PKT4_PKT5_llPT6_ll16rocsparse_order_21rocsparse_index_base_
	.globl	_ZN9rocsparse31csrmmnn_row_split_shared_kernelILj256ELj8E21rocsparse_complex_numIfEllS2_S2_S2_EEvNS_24const_host_device_scalarIT1_EES5_bbbT3_S6_llPKT2_PKS6_PKT4_PKT5_llPT6_ll16rocsparse_order_21rocsparse_index_base_
	.p2align	8
	.type	_ZN9rocsparse31csrmmnn_row_split_shared_kernelILj256ELj8E21rocsparse_complex_numIfEllS2_S2_S2_EEvNS_24const_host_device_scalarIT1_EES5_bbbT3_S6_llPKT2_PKS6_PKT4_PKT5_llPT6_ll16rocsparse_order_21rocsparse_index_base_,@function
_ZN9rocsparse31csrmmnn_row_split_shared_kernelILj256ELj8E21rocsparse_complex_numIfEllS2_S2_S2_EEvNS_24const_host_device_scalarIT1_EES5_bbbT3_S6_llPKT2_PKS6_PKT4_PKT5_llPT6_ll16rocsparse_order_21rocsparse_index_base_: ; @_ZN9rocsparse31csrmmnn_row_split_shared_kernelILj256ELj8E21rocsparse_complex_numIfEllS2_S2_S2_EEvNS_24const_host_device_scalarIT1_EES5_bbbT3_S6_llPKT2_PKS6_PKT4_PKT5_llPT6_ll16rocsparse_order_21rocsparse_index_base_
; %bb.0:
	s_load_dword s33, s[0:1], 0x10
	s_load_dwordx4 s[8:11], s[0:1], 0x0
	s_or_b32 s5, s0, 8
	s_waitcnt lgkmcnt(0)
	s_bitcmp1_b32 s33, 0
	s_cselect_b32 s6, s1, s9
	s_cselect_b32 s7, s0, s8
	v_mov_b32_e32 v2, s7
	v_mov_b32_e32 v3, s6
	s_cselect_b32 s6, s1, s11
	s_cselect_b32 s5, s5, s10
	flat_load_dwordx2 v[12:13], v[2:3]
	v_mov_b32_e32 v2, s5
	v_mov_b32_e32 v3, s6
	flat_load_dwordx2 v[8:9], v[2:3]
	s_waitcnt vmcnt(0) lgkmcnt(0)
	v_cmp_eq_f32_e64 s[6:7], 0, v12
	v_cmp_eq_f32_e64 s[8:9], 0, v13
	s_and_b64 s[6:7], s[6:7], s[8:9]
	v_cmp_eq_f32_e64 s[10:11], 1.0, v8
	v_cmp_eq_f32_e32 vcc, 0, v9
	s_and_b64 s[8:9], s[10:11], vcc
	s_and_b64 s[6:7], s[6:7], s[8:9]
	s_xor_b64 s[6:7], s[6:7], -1
	s_and_saveexec_b64 s[8:9], s[6:7]
	s_cbranch_execz .LBB8_21
; %bb.1:
	s_load_dwordx16 s[8:23], s[0:1], 0x18
	v_lshl_or_b32 v1, s2, 8, v0
	v_lshrrev_b32_e32 v14, 3, v1
	v_mov_b32_e32 v15, 0
	s_waitcnt lgkmcnt(0)
	v_cmp_gt_i64_e64 s[6:7], s[8:9], v[14:15]
	s_and_b64 exec, exec, s[6:7]
	s_cbranch_execz .LBB8_21
; %bb.2:
	s_mul_i32 s2, s13, s4
	s_mul_hi_u32 s5, s12, s4
	s_add_i32 s7, s5, s2
	s_mul_i32 s6, s12, s4
	s_lshl_b64 s[6:7], s[6:7], 3
	s_add_u32 s6, s16, s6
	s_addc_u32 s7, s17, s7
	v_lshlrev_b32_e32 v6, 3, v14
	global_load_dwordx4 v[2:5], v6, s[6:7]
	s_load_dwordx8 s[24:31], s[0:1], 0x58
	s_load_dwordx4 s[36:39], s[0:1], 0x78
	v_and_b32_e32 v16, 7, v0
	v_mov_b32_e32 v11, v15
	v_mov_b32_e32 v23, v15
	v_lshl_or_b32 v10, s3, 3, v16
	v_mov_b32_e32 v22, v15
	s_waitcnt vmcnt(0)
	v_cmp_lt_i64_e64 s[0:1], v[2:3], v[4:5]
	s_and_saveexec_b64 s[8:9], s[0:1]
	s_cbranch_execz .LBB8_10
; %bb.3:
	s_waitcnt lgkmcnt(0)
	v_subrev_co_u32_e64 v18, s[2:3], s39, v2
	v_subrev_co_u32_e64 v4, s[0:1], s39, v4
	s_nop 0
	v_subbrev_co_u32_e64 v19, s[2:3], 0, v3, s[2:3]
	v_mad_u64_u32 v[22:23], s[2:3], s24, v10, 0
	v_mov_b32_e32 v24, v23
	v_lshlrev_b32_e32 v0, 3, v0
	v_subbrev_co_u32_e64 v5, s[0:1], 0, v5, s[0:1]
	s_bitcmp1_b32 s33, 8
	v_mad_u64_u32 v[24:25], s[2:3], s25, v10, v[24:25]
	v_and_b32_e32 v7, 0x7c0, v0
	s_cselect_b64 s[0:1], -1, 0
	s_bitcmp1_b32 s33, 16
	v_mov_b32_e32 v20, s22
	v_mov_b32_e32 v21, s23
	;; [unrolled: 1-line block ×3, first 2 shown]
	v_lshlrev_b32_e32 v0, 3, v16
	v_or_b32_e32 v28, 0x800, v7
	s_mul_i32 s6, s27, s4
	s_mul_hi_u32 s7, s26, s4
	s_cselect_b64 s[12:13], -1, 0
	v_or_b32_e32 v15, v7, v0
	v_or_b32_e32 v29, v28, v0
	s_add_i32 s7, s7, s6
	s_mul_i32 s6, s26, s4
	v_lshl_add_u64 v[0:1], v[22:23], 3, v[20:21]
	v_mov_b32_e32 v20, s4
	v_lshl_add_u64 v[0:1], s[6:7], 3, v[0:1]
	v_mad_u64_u32 v[2:3], s[6:7], s14, v20, v[2:3]
	s_mul_i32 s6, s15, s4
	v_mov_b32_e32 v17, 0
	v_add_u32_e32 v3, s6, v3
	v_lshl_add_u64 v[2:3], v[2:3], 0, v[16:17]
	v_subrev_co_u32_e64 v2, s[6:7], s39, v2
	s_mov_b32 s5, s39
	s_nop 0
	v_subbrev_co_u32_e64 v3, s[6:7], 0, v3, s[6:7]
	v_lshlrev_b64 v[20:21], 3, v[2:3]
	v_lshl_add_u64 v[2:3], s[18:19], 0, v[20:21]
	v_lshl_add_u64 v[20:21], s[20:21], 0, v[20:21]
	v_cmp_gt_i64_e64 s[2:3], s[10:11], v[10:11]
	v_lshl_add_u64 v[20:21], v[20:21], 0, 4
	s_mov_b64 s[14:15], 0
	v_mov_b32_e32 v22, v17
	v_mov_b32_e32 v23, v17
	s_branch .LBB8_5
.LBB8_4:                                ;   in Loop: Header=BB8_5 Depth=1
	s_or_b64 exec, exec, s[6:7]
	v_lshl_add_u64 v[18:19], v[18:19], 0, 8
	v_cmp_ge_i64_e64 s[6:7], v[18:19], v[4:5]
	v_lshl_add_u64 v[2:3], v[2:3], 0, 64
	s_or_b64 s[14:15], s[6:7], s[14:15]
	v_lshl_add_u64 v[20:21], v[20:21], 0, 64
	s_andn2_b64 exec, exec, s[14:15]
	s_cbranch_execz .LBB8_9
.LBB8_5:                                ; =>This Inner Loop Header: Depth=1
	v_lshl_add_u64 v[24:25], v[16:17], 0, v[18:19]
	v_cmp_lt_i64_e64 s[6:7], v[24:25], v[4:5]
	v_mov_b64_e32 v[26:27], 0
	v_mov_b32_e32 v24, 0
	v_mov_b32_e32 v25, 0
	s_barrier
	s_and_saveexec_b64 s[16:17], s[6:7]
	s_cbranch_execz .LBB8_7
; %bb.6:                                ;   in Loop: Header=BB8_5 Depth=1
	global_load_dwordx2 v[26:27], v[2:3], off
	global_load_dwordx2 v[24:25], v[20:21], off offset:-4
	s_waitcnt vmcnt(1)
	v_subrev_co_u32_e64 v26, s[6:7], s5, v26
	s_waitcnt vmcnt(0)
	v_xor_b32_e32 v30, 0x80000000, v25
	v_subbrev_co_u32_e64 v27, s[6:7], 0, v27, s[6:7]
	v_cndmask_b32_e64 v25, v25, v30, s[0:1]
.LBB8_7:                                ;   in Loop: Header=BB8_5 Depth=1
	s_or_b64 exec, exec, s[16:17]
	ds_write_b64 v15, v[26:27]
	ds_write_b64 v29, v[24:25]
	s_waitcnt lgkmcnt(0)
	s_barrier
	s_and_saveexec_b64 s[6:7], s[2:3]
	s_cbranch_execz .LBB8_4
; %bb.8:                                ;   in Loop: Header=BB8_5 Depth=1
	ds_read_b128 v[24:27], v7
	ds_read_b128 v[30:33], v7 offset:16
	ds_read_b128 v[34:37], v7 offset:32
	;; [unrolled: 1-line block ×3, first 2 shown]
	s_waitcnt lgkmcnt(3)
	v_lshl_add_u64 v[24:25], v[24:25], 3, v[0:1]
	global_load_dwordx2 v[54:55], v[24:25], off
	v_lshl_add_u64 v[24:25], v[26:27], 3, v[0:1]
	global_load_dwordx2 v[58:59], v[24:25], off
	s_waitcnt lgkmcnt(2)
	v_lshl_add_u64 v[24:25], v[30:31], 3, v[0:1]
	global_load_dwordx2 v[30:31], v[24:25], off
	ds_read_b128 v[24:27], v28
	ds_read_b128 v[42:45], v28 offset:16
	ds_read_b128 v[46:49], v28 offset:32
	;; [unrolled: 1-line block ×3, first 2 shown]
	s_waitcnt lgkmcnt(4)
	v_lshl_add_u64 v[38:39], v[38:39], 3, v[0:1]
	v_lshl_add_u64 v[40:41], v[40:41], 3, v[0:1]
	global_load_dwordx2 v[40:41], v[40:41], off
	s_waitcnt vmcnt(3)
	v_cndmask_b32_e64 v56, v55, -v55, s[12:13]
	s_waitcnt lgkmcnt(3)
	v_pk_fma_f32 v[22:23], v[24:25], v[54:55], v[22:23] op_sel_hi:[1,0,1]
	s_waitcnt vmcnt(2)
	v_cndmask_b32_e64 v60, v59, -v59, s[12:13]
	v_pk_fma_f32 v[22:23], v[24:25], v[56:57], v[22:23] op_sel:[1,0,0] op_sel_hi:[0,0,1] neg_lo:[1,0,0]
	v_xor_b32_e32 v24, 0x80000000, v27
	v_pk_fma_f32 v[22:23], v[26:27], v[58:59], v[22:23] op_sel_hi:[1,0,1]
	v_mov_b32_e32 v25, v26
	v_pk_fma_f32 v[22:23], v[24:25], v[60:61], v[22:23] op_sel_hi:[1,0,1]
	v_lshl_add_u64 v[24:25], v[32:33], 3, v[0:1]
	global_load_dwordx2 v[24:25], v[24:25], off
	s_waitcnt vmcnt(2)
	v_cndmask_b32_e64 v62, v31, -v31, s[12:13]
	s_waitcnt lgkmcnt(2)
	v_pk_fma_f32 v[22:23], v[42:43], v[30:31], v[22:23] op_sel_hi:[1,0,1]
	v_lshl_add_u64 v[30:31], v[34:35], 3, v[0:1]
	global_load_dwordx2 v[30:31], v[30:31], off
	v_lshl_add_u64 v[34:35], v[36:37], 3, v[0:1]
	global_load_dwordx2 v[34:35], v[34:35], off
	v_pk_fma_f32 v[22:23], v[42:43], v[62:63], v[22:23] op_sel:[1,0,0] op_sel_hi:[0,0,1] neg_lo:[1,0,0]
	global_load_dwordx2 v[38:39], v[38:39], off
	v_xor_b32_e32 v56, 0x80000000, v45
	v_mov_b32_e32 v57, v44
	s_waitcnt vmcnt(4)
	v_cndmask_b32_e64 v54, v41, -v41, s[12:13]
	s_waitcnt vmcnt(3)
	v_cndmask_b32_e64 v26, v25, -v25, s[12:13]
	v_pk_fma_f32 v[22:23], v[44:45], v[24:25], v[22:23] op_sel_hi:[1,0,1]
	s_waitcnt lgkmcnt(1)
	v_xor_b32_e32 v24, 0x80000000, v49
	v_pk_fma_f32 v[22:23], v[56:57], v[26:27], v[22:23] op_sel_hi:[1,0,1]
	s_waitcnt vmcnt(2)
	v_cndmask_b32_e64 v32, v31, -v31, s[12:13]
	v_pk_fma_f32 v[22:23], v[46:47], v[30:31], v[22:23] op_sel_hi:[1,0,1]
	s_waitcnt vmcnt(1)
	v_cndmask_b32_e64 v36, v35, -v35, s[12:13]
	v_pk_fma_f32 v[22:23], v[46:47], v[32:33], v[22:23] op_sel:[1,0,0] op_sel_hi:[0,0,1] neg_lo:[1,0,0]
	v_pk_fma_f32 v[22:23], v[48:49], v[34:35], v[22:23] op_sel_hi:[1,0,1]
	v_mov_b32_e32 v25, v48
	v_pk_fma_f32 v[22:23], v[24:25], v[36:37], v[22:23] op_sel_hi:[1,0,1]
	s_waitcnt vmcnt(0)
	v_cndmask_b32_e64 v42, v39, -v39, s[12:13]
	s_waitcnt lgkmcnt(0)
	v_pk_fma_f32 v[22:23], v[50:51], v[38:39], v[22:23] op_sel_hi:[1,0,1]
	v_xor_b32_e32 v24, 0x80000000, v53
	v_pk_fma_f32 v[22:23], v[50:51], v[42:43], v[22:23] op_sel:[1,0,0] op_sel_hi:[0,0,1] neg_lo:[1,0,0]
	v_pk_fma_f32 v[22:23], v[52:53], v[40:41], v[22:23] op_sel_hi:[1,0,1]
	v_mov_b32_e32 v25, v52
	v_pk_fma_f32 v[22:23], v[24:25], v[54:55], v[22:23] op_sel_hi:[1,0,1]
	s_branch .LBB8_4
.LBB8_9:
	s_or_b64 exec, exec, s[14:15]
.LBB8_10:
	s_or_b64 exec, exec, s[8:9]
	v_cmp_gt_i64_e64 s[0:1], s[10:11], v[10:11]
	s_and_b64 exec, exec, s[0:1]
	s_cbranch_execz .LBB8_21
; %bb.11:
	v_cmp_neq_f32_e64 s[0:1], 0, v8
	s_xor_b64 s[2:3], vcc, -1
	s_or_b64 s[10:11], s[0:1], s[2:3]
	s_waitcnt lgkmcnt(0)
	s_cmp_lg_u32 s38, 1
	s_mov_b64 s[6:7], -1
	s_cselect_b64 s[2:3], -1, 0
	s_mul_i32 s8, s37, s4
	s_mul_hi_u32 s9, s36, s4
	s_mul_i32 s0, s36, s4
	s_and_saveexec_b64 s[4:5], s[10:11]
	s_xor_b64 s[4:5], exec, s[4:5]
	s_cbranch_execz .LBB8_16
; %bb.12:
	v_xor_b32_e32 v0, 0x80000000, v13
	v_mov_b32_e32 v1, v12
	v_pk_mul_f32 v[0:1], v[22:23], v[0:1] op_sel:[1,0]
	s_add_i32 s1, s9, s8
	v_pk_fma_f32 v[0:1], v[12:13], v[22:23], v[0:1] op_sel_hi:[1,0,1]
	s_and_b64 vcc, exec, s[2:3]
	s_cbranch_vccz .LBB8_14
; %bb.13:
	v_mad_u64_u32 v[2:3], s[6:7], s30, v14, 0
	v_mov_b32_e32 v4, v3
	v_mad_u64_u32 v[4:5], s[6:7], s31, v14, v[4:5]
	v_mov_b32_e32 v3, v4
	v_lshl_add_u64 v[2:3], v[2:3], 3, s[28:29]
	v_lshl_add_u64 v[2:3], v[10:11], 3, v[2:3]
	v_lshl_add_u64 v[2:3], s[0:1], 3, v[2:3]
	global_load_dwordx2 v[4:5], v[2:3], off
	v_xor_b32_e32 v12, 0x80000000, v9
	v_mov_b32_e32 v13, v8
	s_mov_b64 s[6:7], 0
	s_waitcnt vmcnt(0)
	v_pk_fma_f32 v[14:15], v[8:9], v[4:5], v[0:1] op_sel_hi:[1,0,1]
	s_nop 0
	v_pk_fma_f32 v[4:5], v[12:13], v[4:5], v[14:15] op_sel:[0,1,0]
	global_store_dwordx2 v[2:3], v[4:5], off
.LBB8_14:
	s_andn2_b64 vcc, exec, s[6:7]
                                        ; implicit-def: $vgpr12_vgpr13
                                        ; implicit-def: $vgpr22_vgpr23
                                        ; implicit-def: $vgpr14_vgpr15
	s_cbranch_vccnz .LBB8_16
; %bb.15:
	v_mad_u64_u32 v[2:3], s[6:7], s30, v10, 0
	v_mov_b32_e32 v4, v3
	v_mad_u64_u32 v[4:5], s[6:7], s31, v10, v[4:5]
	v_mov_b32_e32 v3, v4
	v_lshl_add_u64 v[2:3], v[2:3], 3, s[28:29]
	v_mov_b32_e32 v7, 0
	v_lshl_add_u64 v[2:3], v[2:3], 0, v[6:7]
	v_lshl_add_u64 v[2:3], s[0:1], 3, v[2:3]
	global_load_dwordx2 v[4:5], v[2:3], off
	v_xor_b32_e32 v6, 0x80000000, v9
	v_mov_b32_e32 v7, v8
                                        ; implicit-def: $vgpr10_vgpr11
                                        ; implicit-def: $vgpr12_vgpr13
                                        ; implicit-def: $vgpr22_vgpr23
                                        ; implicit-def: $vgpr14_vgpr15
	s_waitcnt vmcnt(0)
	v_pk_fma_f32 v[0:1], v[8:9], v[4:5], v[0:1] op_sel_hi:[1,0,1]
	s_nop 0
	v_pk_fma_f32 v[0:1], v[6:7], v[4:5], v[0:1] op_sel:[0,1,0]
	global_store_dwordx2 v[2:3], v[0:1], off
                                        ; implicit-def: $vgpr6
.LBB8_16:
	s_andn2_saveexec_b64 s[4:5], s[4:5]
	s_cbranch_execz .LBB8_21
; %bb.17:
	v_xor_b32_e32 v0, 0x80000000, v13
	v_mov_b32_e32 v1, v12
	v_pk_mul_f32 v[0:1], v[22:23], v[0:1] op_sel:[1,0]
	s_add_i32 s1, s9, s8
	v_pk_fma_f32 v[0:1], v[12:13], v[22:23], v[0:1] op_sel_hi:[1,0,1]
	s_mov_b64 s[4:5], -1
	s_and_b64 vcc, exec, s[2:3]
	s_cbranch_vccz .LBB8_19
; %bb.18:
	v_mad_u64_u32 v[2:3], s[2:3], s30, v14, 0
	v_mov_b32_e32 v4, v3
	v_mad_u64_u32 v[4:5], s[2:3], s31, v14, v[4:5]
	v_mov_b32_e32 v3, v4
	v_lshl_add_u64 v[2:3], v[2:3], 3, s[28:29]
	v_lshl_add_u64 v[2:3], v[10:11], 3, v[2:3]
	;; [unrolled: 1-line block ×3, first 2 shown]
	global_store_dwordx2 v[2:3], v[0:1], off
	s_mov_b64 s[4:5], 0
.LBB8_19:
	s_andn2_b64 vcc, exec, s[4:5]
	s_cbranch_vccnz .LBB8_21
; %bb.20:
	v_mad_u64_u32 v[2:3], s[2:3], s30, v10, 0
	v_mov_b32_e32 v4, v3
	v_mad_u64_u32 v[4:5], s[2:3], s31, v10, v[4:5]
	v_mov_b32_e32 v3, v4
	v_lshl_add_u64 v[2:3], v[2:3], 3, s[28:29]
	v_mov_b32_e32 v7, 0
	v_lshl_add_u64 v[2:3], v[2:3], 0, v[6:7]
	v_lshl_add_u64 v[2:3], s[0:1], 3, v[2:3]
	global_store_dwordx2 v[2:3], v[0:1], off
.LBB8_21:
	s_endpgm
	.section	.rodata,"a",@progbits
	.p2align	6, 0x0
	.amdhsa_kernel _ZN9rocsparse31csrmmnn_row_split_shared_kernelILj256ELj8E21rocsparse_complex_numIfEllS2_S2_S2_EEvNS_24const_host_device_scalarIT1_EES5_bbbT3_S6_llPKT2_PKS6_PKT4_PKT5_llPT6_ll16rocsparse_order_21rocsparse_index_base_
		.amdhsa_group_segment_fixed_size 4096
		.amdhsa_private_segment_fixed_size 0
		.amdhsa_kernarg_size 136
		.amdhsa_user_sgpr_count 2
		.amdhsa_user_sgpr_dispatch_ptr 0
		.amdhsa_user_sgpr_queue_ptr 0
		.amdhsa_user_sgpr_kernarg_segment_ptr 1
		.amdhsa_user_sgpr_dispatch_id 0
		.amdhsa_user_sgpr_kernarg_preload_length 0
		.amdhsa_user_sgpr_kernarg_preload_offset 0
		.amdhsa_user_sgpr_private_segment_size 0
		.amdhsa_uses_dynamic_stack 0
		.amdhsa_enable_private_segment 0
		.amdhsa_system_sgpr_workgroup_id_x 1
		.amdhsa_system_sgpr_workgroup_id_y 1
		.amdhsa_system_sgpr_workgroup_id_z 1
		.amdhsa_system_sgpr_workgroup_info 0
		.amdhsa_system_vgpr_workitem_id 0
		.amdhsa_next_free_vgpr 64
		.amdhsa_next_free_sgpr 40
		.amdhsa_accum_offset 64
		.amdhsa_reserve_vcc 1
		.amdhsa_float_round_mode_32 0
		.amdhsa_float_round_mode_16_64 0
		.amdhsa_float_denorm_mode_32 3
		.amdhsa_float_denorm_mode_16_64 3
		.amdhsa_dx10_clamp 1
		.amdhsa_ieee_mode 1
		.amdhsa_fp16_overflow 0
		.amdhsa_tg_split 0
		.amdhsa_exception_fp_ieee_invalid_op 0
		.amdhsa_exception_fp_denorm_src 0
		.amdhsa_exception_fp_ieee_div_zero 0
		.amdhsa_exception_fp_ieee_overflow 0
		.amdhsa_exception_fp_ieee_underflow 0
		.amdhsa_exception_fp_ieee_inexact 0
		.amdhsa_exception_int_div_zero 0
	.end_amdhsa_kernel
	.section	.text._ZN9rocsparse31csrmmnn_row_split_shared_kernelILj256ELj8E21rocsparse_complex_numIfEllS2_S2_S2_EEvNS_24const_host_device_scalarIT1_EES5_bbbT3_S6_llPKT2_PKS6_PKT4_PKT5_llPT6_ll16rocsparse_order_21rocsparse_index_base_,"axG",@progbits,_ZN9rocsparse31csrmmnn_row_split_shared_kernelILj256ELj8E21rocsparse_complex_numIfEllS2_S2_S2_EEvNS_24const_host_device_scalarIT1_EES5_bbbT3_S6_llPKT2_PKS6_PKT4_PKT5_llPT6_ll16rocsparse_order_21rocsparse_index_base_,comdat
.Lfunc_end8:
	.size	_ZN9rocsparse31csrmmnn_row_split_shared_kernelILj256ELj8E21rocsparse_complex_numIfEllS2_S2_S2_EEvNS_24const_host_device_scalarIT1_EES5_bbbT3_S6_llPKT2_PKS6_PKT4_PKT5_llPT6_ll16rocsparse_order_21rocsparse_index_base_, .Lfunc_end8-_ZN9rocsparse31csrmmnn_row_split_shared_kernelILj256ELj8E21rocsparse_complex_numIfEllS2_S2_S2_EEvNS_24const_host_device_scalarIT1_EES5_bbbT3_S6_llPKT2_PKS6_PKT4_PKT5_llPT6_ll16rocsparse_order_21rocsparse_index_base_
                                        ; -- End function
	.set _ZN9rocsparse31csrmmnn_row_split_shared_kernelILj256ELj8E21rocsparse_complex_numIfEllS2_S2_S2_EEvNS_24const_host_device_scalarIT1_EES5_bbbT3_S6_llPKT2_PKS6_PKT4_PKT5_llPT6_ll16rocsparse_order_21rocsparse_index_base_.num_vgpr, 64
	.set _ZN9rocsparse31csrmmnn_row_split_shared_kernelILj256ELj8E21rocsparse_complex_numIfEllS2_S2_S2_EEvNS_24const_host_device_scalarIT1_EES5_bbbT3_S6_llPKT2_PKS6_PKT4_PKT5_llPT6_ll16rocsparse_order_21rocsparse_index_base_.num_agpr, 0
	.set _ZN9rocsparse31csrmmnn_row_split_shared_kernelILj256ELj8E21rocsparse_complex_numIfEllS2_S2_S2_EEvNS_24const_host_device_scalarIT1_EES5_bbbT3_S6_llPKT2_PKS6_PKT4_PKT5_llPT6_ll16rocsparse_order_21rocsparse_index_base_.numbered_sgpr, 40
	.set _ZN9rocsparse31csrmmnn_row_split_shared_kernelILj256ELj8E21rocsparse_complex_numIfEllS2_S2_S2_EEvNS_24const_host_device_scalarIT1_EES5_bbbT3_S6_llPKT2_PKS6_PKT4_PKT5_llPT6_ll16rocsparse_order_21rocsparse_index_base_.num_named_barrier, 0
	.set _ZN9rocsparse31csrmmnn_row_split_shared_kernelILj256ELj8E21rocsparse_complex_numIfEllS2_S2_S2_EEvNS_24const_host_device_scalarIT1_EES5_bbbT3_S6_llPKT2_PKS6_PKT4_PKT5_llPT6_ll16rocsparse_order_21rocsparse_index_base_.private_seg_size, 0
	.set _ZN9rocsparse31csrmmnn_row_split_shared_kernelILj256ELj8E21rocsparse_complex_numIfEllS2_S2_S2_EEvNS_24const_host_device_scalarIT1_EES5_bbbT3_S6_llPKT2_PKS6_PKT4_PKT5_llPT6_ll16rocsparse_order_21rocsparse_index_base_.uses_vcc, 1
	.set _ZN9rocsparse31csrmmnn_row_split_shared_kernelILj256ELj8E21rocsparse_complex_numIfEllS2_S2_S2_EEvNS_24const_host_device_scalarIT1_EES5_bbbT3_S6_llPKT2_PKS6_PKT4_PKT5_llPT6_ll16rocsparse_order_21rocsparse_index_base_.uses_flat_scratch, 0
	.set _ZN9rocsparse31csrmmnn_row_split_shared_kernelILj256ELj8E21rocsparse_complex_numIfEllS2_S2_S2_EEvNS_24const_host_device_scalarIT1_EES5_bbbT3_S6_llPKT2_PKS6_PKT4_PKT5_llPT6_ll16rocsparse_order_21rocsparse_index_base_.has_dyn_sized_stack, 0
	.set _ZN9rocsparse31csrmmnn_row_split_shared_kernelILj256ELj8E21rocsparse_complex_numIfEllS2_S2_S2_EEvNS_24const_host_device_scalarIT1_EES5_bbbT3_S6_llPKT2_PKS6_PKT4_PKT5_llPT6_ll16rocsparse_order_21rocsparse_index_base_.has_recursion, 0
	.set _ZN9rocsparse31csrmmnn_row_split_shared_kernelILj256ELj8E21rocsparse_complex_numIfEllS2_S2_S2_EEvNS_24const_host_device_scalarIT1_EES5_bbbT3_S6_llPKT2_PKS6_PKT4_PKT5_llPT6_ll16rocsparse_order_21rocsparse_index_base_.has_indirect_call, 0
	.section	.AMDGPU.csdata,"",@progbits
; Kernel info:
; codeLenInByte = 1736
; TotalNumSgprs: 46
; NumVgprs: 64
; NumAgprs: 0
; TotalNumVgprs: 64
; ScratchSize: 0
; MemoryBound: 0
; FloatMode: 240
; IeeeMode: 1
; LDSByteSize: 4096 bytes/workgroup (compile time only)
; SGPRBlocks: 5
; VGPRBlocks: 7
; NumSGPRsForWavesPerEU: 46
; NumVGPRsForWavesPerEU: 64
; AccumOffset: 64
; Occupancy: 8
; WaveLimiterHint : 0
; COMPUTE_PGM_RSRC2:SCRATCH_EN: 0
; COMPUTE_PGM_RSRC2:USER_SGPR: 2
; COMPUTE_PGM_RSRC2:TRAP_HANDLER: 0
; COMPUTE_PGM_RSRC2:TGID_X_EN: 1
; COMPUTE_PGM_RSRC2:TGID_Y_EN: 1
; COMPUTE_PGM_RSRC2:TGID_Z_EN: 1
; COMPUTE_PGM_RSRC2:TIDIG_COMP_CNT: 0
; COMPUTE_PGM_RSRC3_GFX90A:ACCUM_OFFSET: 15
; COMPUTE_PGM_RSRC3_GFX90A:TG_SPLIT: 0
	.section	.text._ZN9rocsparse31csrmmnn_row_split_shared_kernelILj256ELj8E21rocsparse_complex_numIdEiiS2_S2_S2_EEvNS_24const_host_device_scalarIT1_EES5_bbbT3_S6_llPKT2_PKS6_PKT4_PKT5_llPT6_ll16rocsparse_order_21rocsparse_index_base_,"axG",@progbits,_ZN9rocsparse31csrmmnn_row_split_shared_kernelILj256ELj8E21rocsparse_complex_numIdEiiS2_S2_S2_EEvNS_24const_host_device_scalarIT1_EES5_bbbT3_S6_llPKT2_PKS6_PKT4_PKT5_llPT6_ll16rocsparse_order_21rocsparse_index_base_,comdat
	.protected	_ZN9rocsparse31csrmmnn_row_split_shared_kernelILj256ELj8E21rocsparse_complex_numIdEiiS2_S2_S2_EEvNS_24const_host_device_scalarIT1_EES5_bbbT3_S6_llPKT2_PKS6_PKT4_PKT5_llPT6_ll16rocsparse_order_21rocsparse_index_base_ ; -- Begin function _ZN9rocsparse31csrmmnn_row_split_shared_kernelILj256ELj8E21rocsparse_complex_numIdEiiS2_S2_S2_EEvNS_24const_host_device_scalarIT1_EES5_bbbT3_S6_llPKT2_PKS6_PKT4_PKT5_llPT6_ll16rocsparse_order_21rocsparse_index_base_
	.globl	_ZN9rocsparse31csrmmnn_row_split_shared_kernelILj256ELj8E21rocsparse_complex_numIdEiiS2_S2_S2_EEvNS_24const_host_device_scalarIT1_EES5_bbbT3_S6_llPKT2_PKS6_PKT4_PKT5_llPT6_ll16rocsparse_order_21rocsparse_index_base_
	.p2align	8
	.type	_ZN9rocsparse31csrmmnn_row_split_shared_kernelILj256ELj8E21rocsparse_complex_numIdEiiS2_S2_S2_EEvNS_24const_host_device_scalarIT1_EES5_bbbT3_S6_llPKT2_PKS6_PKT4_PKT5_llPT6_ll16rocsparse_order_21rocsparse_index_base_,@function
_ZN9rocsparse31csrmmnn_row_split_shared_kernelILj256ELj8E21rocsparse_complex_numIdEiiS2_S2_S2_EEvNS_24const_host_device_scalarIT1_EES5_bbbT3_S6_llPKT2_PKS6_PKT4_PKT5_llPT6_ll16rocsparse_order_21rocsparse_index_base_: ; @_ZN9rocsparse31csrmmnn_row_split_shared_kernelILj256ELj8E21rocsparse_complex_numIdEiiS2_S2_S2_EEvNS_24const_host_device_scalarIT1_EES5_bbbT3_S6_llPKT2_PKS6_PKT4_PKT5_llPT6_ll16rocsparse_order_21rocsparse_index_base_
; %bb.0:
	s_load_dword s30, s[0:1], 0x20
	s_load_dwordx2 s[6:7], s[0:1], 0x0
	s_load_dwordx2 s[8:9], s[0:1], 0x10
	s_add_u32 s5, s0, 16
	s_addc_u32 s10, s1, 0
	s_waitcnt lgkmcnt(0)
	s_bitcmp1_b32 s30, 0
	s_cselect_b32 s7, s1, s7
	s_cselect_b32 s6, s0, s6
	v_mov_b32_e32 v2, s6
	v_mov_b32_e32 v3, s7
	flat_load_dwordx4 v[6:9], v[2:3]
	s_cselect_b32 s6, s10, s9
	s_cselect_b32 s5, s5, s8
	v_mov_b32_e32 v2, s5
	v_mov_b32_e32 v3, s6
	flat_load_dwordx4 v[2:5], v[2:3]
	s_waitcnt vmcnt(0) lgkmcnt(0)
	v_cmp_eq_f64_e32 vcc, 0, v[6:7]
	v_cmp_eq_f64_e64 s[6:7], 0, v[8:9]
	s_and_b64 s[10:11], vcc, s[6:7]
	s_mov_b64 s[6:7], -1
	s_and_saveexec_b64 s[8:9], s[10:11]
; %bb.1:
	v_cmp_neq_f64_e32 vcc, 1.0, v[2:3]
	v_cmp_neq_f64_e64 s[6:7], 0, v[4:5]
	s_or_b64 s[6:7], vcc, s[6:7]
	s_orn2_b64 s[6:7], s[6:7], exec
; %bb.2:
	s_or_b64 exec, exec, s[8:9]
	s_and_saveexec_b64 s[8:9], s[6:7]
	s_cbranch_execz .LBB9_23
; %bb.3:
	s_load_dwordx4 s[24:27], s[0:1], 0x20
	v_lshl_or_b32 v1, s2, 8, v0
	v_lshrrev_b32_e32 v14, 3, v1
	s_waitcnt lgkmcnt(0)
	v_cmp_gt_i32_e32 vcc, s25, v14
	s_and_b64 exec, exec, vcc
	s_cbranch_execz .LBB9_23
; %bb.4:
	s_load_dwordx16 s[8:23], s[0:1], 0x30
	s_ashr_i32 s5, s4, 31
	v_lshlrev_b32_e32 v1, 2, v14
	v_and_b32_e32 v24, 7, v0
	v_lshl_or_b32 v16, s3, 3, v24
	s_waitcnt lgkmcnt(0)
	s_mul_hi_u32 s2, s8, s4
	s_mul_i32 s7, s8, s5
	s_mul_i32 s9, s9, s4
	s_add_i32 s2, s2, s7
	s_mul_i32 s6, s8, s4
	s_add_i32 s7, s2, s9
	s_lshl_b64 s[6:7], s[6:7], 2
	s_add_u32 s6, s12, s6
	s_addc_u32 s7, s13, s7
	global_load_dwordx2 v[10:11], v1, s[6:7]
	s_load_dwordx2 s[12:13], s[0:1], 0x88
	v_mov_b32_e32 v15, 0
	v_mov_b64_e32 v[18:19], 0
	v_ashrrev_i32_e32 v17, 31, v16
	v_mov_b64_e32 v[20:21], 0
	s_waitcnt vmcnt(0)
	v_cmp_lt_i32_e32 vcc, v10, v11
	s_and_saveexec_b64 s[28:29], vcc
	s_cbranch_execz .LBB9_12
; %bb.5:
	s_bitcmp1_b32 s30, 8
	s_waitcnt lgkmcnt(0)
	v_subrev_u32_e32 v25, s13, v11
	s_cselect_b64 vcc, -1, 0
	s_bitcmp1_b32 s24, 16
	v_subrev_u32_e32 v26, s13, v10
	v_mul_lo_u32 v13, s21, v16
	v_mul_lo_u32 v18, s20, v17
	v_mad_u64_u32 v[10:11], s[6:7], s20, v16, 0
	s_mul_i32 s8, s22, s5
	s_mul_hi_u32 s9, s22, s4
	v_lshrrev_b32_e32 v12, 3, v0
	s_cselect_b64 s[2:3], -1, 0
	v_mov_b32_e32 v0, s18
	v_mov_b32_e32 v1, s19
	v_add3_u32 v11, v11, v18, v13
	v_mov_b32_e32 v13, 0x1000
	s_mul_i32 s6, s10, s5
	s_mul_hi_u32 s7, s10, s4
	s_add_i32 s8, s9, s8
	s_mul_i32 s9, s23, s4
	v_lshl_or_b32 v27, v12, 5, v13
	v_lshlrev_b32_e32 v29, 7, v12
	s_add_i32 s6, s7, s6
	s_mul_i32 s7, s11, s4
	s_add_i32 s9, s8, s9
	s_mul_i32 s8, s22, s4
	v_lshl_add_u64 v[0:1], v[10:11], 4, v[0:1]
	v_lshl_or_b32 v28, v24, 2, v27
	v_lshl_or_b32 v30, v24, 4, v29
	s_add_i32 s11, s6, s7
	s_mul_i32 s10, s10, s4
	v_cmp_gt_i32_e64 s[6:7], s26, v16
	v_lshl_add_u64 v[0:1], s[8:9], 4, v[0:1]
	v_mov_b64_e32 v[18:19], 0
	s_mov_b64 s[18:19], 0
	v_mov_b64_e32 v[20:21], 0
	s_branch .LBB9_7
.LBB9_6:                                ;   in Loop: Header=BB9_7 Depth=1
	s_or_b64 exec, exec, s[8:9]
	v_add_u32_e32 v26, 8, v26
	v_cmp_ge_i32_e64 s[8:9], v26, v25
	s_or_b64 s[18:19], s[8:9], s[18:19]
	s_andn2_b64 exec, exec, s[18:19]
	s_cbranch_execz .LBB9_11
.LBB9_7:                                ; =>This Inner Loop Header: Depth=1
	v_add_u32_e32 v22, v24, v26
	v_cmp_lt_i32_e64 s[8:9], v22, v25
	v_mov_b32_e32 v23, 0
	v_mov_b64_e32 v[10:11], 0
	v_mov_b64_e32 v[12:13], 0
	s_barrier
	s_and_saveexec_b64 s[20:21], s[8:9]
	s_cbranch_execz .LBB9_9
; %bb.8:                                ;   in Loop: Header=BB9_7 Depth=1
	v_ashrrev_i32_e32 v23, 31, v22
	v_lshl_add_u64 v[10:11], s[10:11], 0, v[22:23]
	v_lshl_add_u64 v[12:13], v[10:11], 2, s[14:15]
	;; [unrolled: 1-line block ×3, first 2 shown]
	global_load_dword v22, v[12:13], off
	s_waitcnt vmcnt(0)
	v_subrev_u32_e32 v23, s13, v22
	global_load_dwordx4 v[10:13], v[10:11], off
	s_waitcnt vmcnt(0)
	v_xor_b32_e32 v22, 0x80000000, v13
	v_cndmask_b32_e32 v13, v13, v22, vcc
.LBB9_9:                                ;   in Loop: Header=BB9_7 Depth=1
	s_or_b64 exec, exec, s[20:21]
	ds_write_b32 v28, v23
	ds_write_b128 v30, v[10:13]
	s_waitcnt lgkmcnt(0)
	s_barrier
	s_and_saveexec_b64 s[8:9], s[6:7]
	s_cbranch_execz .LBB9_6
; %bb.10:                               ;   in Loop: Header=BB9_7 Depth=1
	ds_read_b128 v[10:13], v27
	ds_read_b128 v[32:35], v27 offset:16
	s_waitcnt lgkmcnt(1)
	v_ashrrev_i32_e32 v23, 31, v10
	v_mov_b32_e32 v22, v10
	v_ashrrev_i32_e32 v37, 31, v11
	v_mov_b32_e32 v36, v11
	v_lshl_add_u64 v[10:11], v[22:23], 4, v[0:1]
	v_lshl_add_u64 v[22:23], v[36:37], 4, v[0:1]
	global_load_dwordx4 v[36:39], v[10:11], off
	global_load_dwordx4 v[40:43], v[22:23], off
	v_ashrrev_i32_e32 v11, 31, v12
	v_mov_b32_e32 v10, v12
	v_lshl_add_u64 v[22:23], v[10:11], 4, v[0:1]
	v_ashrrev_i32_e32 v11, 31, v13
	v_mov_b32_e32 v10, v13
	v_lshl_add_u64 v[48:49], v[10:11], 4, v[0:1]
	global_load_dwordx4 v[10:13], v[22:23], off
	global_load_dwordx4 v[44:47], v[48:49], off
	s_waitcnt lgkmcnt(0)
	v_ashrrev_i32_e32 v23, 31, v32
	v_mov_b32_e32 v22, v32
	v_lshl_add_u64 v[22:23], v[22:23], 4, v[0:1]
	v_ashrrev_i32_e32 v49, 31, v33
	v_mov_b32_e32 v48, v33
	v_lshl_add_u64 v[32:33], v[48:49], 4, v[0:1]
	global_load_dwordx4 v[48:51], v[22:23], off
	global_load_dwordx4 v[52:55], v[32:33], off
	v_ashrrev_i32_e32 v23, 31, v34
	v_mov_b32_e32 v22, v34
	v_lshl_add_u64 v[22:23], v[22:23], 4, v[0:1]
	global_load_dwordx4 v[56:59], v[22:23], off
	v_ashrrev_i32_e32 v23, 31, v35
	v_mov_b32_e32 v22, v35
	v_lshl_add_u64 v[22:23], v[22:23], 4, v[0:1]
	global_load_dwordx4 v[32:35], v[22:23], off
	ds_read_b128 v[60:63], v29
	ds_read_b128 v[64:67], v29 offset:16
	ds_read_b128 v[68:71], v29 offset:32
	;; [unrolled: 1-line block ×7, first 2 shown]
	s_waitcnt vmcnt(7)
	v_xor_b32_e32 v22, 0x80000000, v39
	s_waitcnt lgkmcnt(7)
	v_fmac_f64_e32 v[20:21], v[60:61], v[36:37]
	v_fmac_f64_e32 v[18:19], v[62:63], v[36:37]
	v_cndmask_b32_e64 v39, v39, v22, s[2:3]
	s_waitcnt vmcnt(6)
	v_xor_b32_e32 v23, 0x80000000, v43
	v_fma_f64 v[20:21], -v[62:63], v[38:39], v[20:21]
	v_fmac_f64_e32 v[18:19], v[60:61], v[38:39]
	v_cndmask_b32_e64 v43, v43, v23, s[2:3]
	s_waitcnt lgkmcnt(6)
	v_fmac_f64_e32 v[20:21], v[64:65], v[40:41]
	v_fmac_f64_e32 v[18:19], v[66:67], v[40:41]
	s_waitcnt vmcnt(5)
	v_xor_b32_e32 v31, 0x80000000, v13
	v_fma_f64 v[20:21], -v[66:67], v[42:43], v[20:21]
	v_fmac_f64_e32 v[18:19], v[64:65], v[42:43]
	v_cndmask_b32_e64 v13, v13, v31, s[2:3]
	s_waitcnt lgkmcnt(5)
	v_fmac_f64_e32 v[20:21], v[68:69], v[10:11]
	v_fmac_f64_e32 v[18:19], v[70:71], v[10:11]
	;; [unrolled: 8-line block ×7, first 2 shown]
	v_fma_f64 v[20:21], -v[90:91], v[34:35], v[10:11]
	v_fmac_f64_e32 v[18:19], v[88:89], v[34:35]
	s_branch .LBB9_6
.LBB9_11:
	s_or_b64 exec, exec, s[18:19]
.LBB9_12:
	s_or_b64 exec, exec, s[28:29]
	v_cmp_gt_i32_e32 vcc, s26, v16
	s_and_b64 exec, exec, vcc
	s_cbranch_execz .LBB9_23
; %bb.13:
	s_load_dwordx4 s[8:11], s[0:1], 0x70
	s_load_dwordx2 s[6:7], s[0:1], 0x80
	v_cmp_neq_f64_e32 vcc, 0, v[2:3]
	v_cmp_neq_f64_e64 s[0:1], 0, v[4:5]
	s_or_b64 s[16:17], vcc, s[0:1]
	s_waitcnt lgkmcnt(0)
	s_cmp_lg_u32 s12, 1
	v_mul_f64 v[10:11], v[18:19], -v[8:9]
	v_mul_f64 v[12:13], v[6:7], v[18:19]
	s_cselect_b64 s[2:3], -1, 0
	s_mul_i32 s12, s6, s5
	s_mul_hi_u32 s13, s6, s4
	s_mul_i32 s14, s7, s4
	s_mul_i32 s0, s6, s4
	v_fmac_f64_e32 v[10:11], v[6:7], v[20:21]
	v_fmac_f64_e32 v[12:13], v[8:9], v[20:21]
	s_and_saveexec_b64 s[4:5], s[16:17]
	s_xor_b64 s[4:5], exec, s[4:5]
	s_cbranch_execz .LBB9_18
; %bb.14:
	s_add_i32 s1, s13, s12
	s_add_i32 s1, s1, s14
	s_mov_b64 s[6:7], -1
	s_and_b64 vcc, exec, s[2:3]
	s_cbranch_vccz .LBB9_16
; %bb.15:
	v_mad_u64_u32 v[0:1], s[6:7], s10, v14, 0
	v_mov_b32_e32 v6, v1
	v_mad_u64_u32 v[6:7], s[6:7], s11, v14, v[6:7]
	v_mov_b32_e32 v1, v6
	v_lshl_add_u64 v[0:1], v[0:1], 4, s[8:9]
	v_lshl_add_u64 v[0:1], v[16:17], 4, v[0:1]
	;; [unrolled: 1-line block ×3, first 2 shown]
	global_load_dwordx4 v[6:9], v[0:1], off
	s_mov_b64 s[6:7], 0
	s_waitcnt vmcnt(0)
	v_fma_f64 v[18:19], v[2:3], v[6:7], v[10:11]
	v_fma_f64 v[20:21], v[4:5], v[6:7], v[12:13]
	v_fma_f64 v[18:19], -v[4:5], v[8:9], v[18:19]
	v_fmac_f64_e32 v[20:21], v[2:3], v[8:9]
	global_store_dwordx4 v[0:1], v[18:21], off
.LBB9_16:
	s_andn2_b64 vcc, exec, s[6:7]
	s_cbranch_vccnz .LBB9_18
; %bb.17:
	v_mul_lo_u32 v6, s11, v16
	v_mul_lo_u32 v7, s10, v17
	v_mad_u64_u32 v[0:1], s[6:7], s10, v16, 0
	v_add3_u32 v1, v1, v7, v6
	v_lshl_add_u64 v[0:1], v[0:1], 4, s[8:9]
	v_lshl_add_u64 v[0:1], v[14:15], 4, v[0:1]
	;; [unrolled: 1-line block ×3, first 2 shown]
	global_load_dwordx4 v[6:9], v[0:1], off
                                        ; implicit-def: $vgpr16_vgpr17
                                        ; implicit-def: $vgpr14_vgpr15
	s_waitcnt vmcnt(0)
	v_fmac_f64_e32 v[10:11], v[2:3], v[6:7]
	v_fmac_f64_e32 v[12:13], v[4:5], v[6:7]
	v_fma_f64 v[10:11], -v[4:5], v[8:9], v[10:11]
	v_fmac_f64_e32 v[12:13], v[2:3], v[8:9]
	global_store_dwordx4 v[0:1], v[10:13], off
                                        ; implicit-def: $vgpr10_vgpr11
.LBB9_18:
	s_andn2_saveexec_b64 s[4:5], s[4:5]
	s_cbranch_execz .LBB9_23
; %bb.19:
	s_add_i32 s1, s13, s12
	s_add_i32 s1, s1, s14
	s_mov_b64 s[4:5], -1
	s_and_b64 vcc, exec, s[2:3]
	s_cbranch_vccz .LBB9_21
; %bb.20:
	v_mad_u64_u32 v[0:1], s[2:3], s10, v14, 0
	v_mov_b32_e32 v2, v1
	v_mad_u64_u32 v[2:3], s[2:3], s11, v14, v[2:3]
	v_mov_b32_e32 v1, v2
	v_lshl_add_u64 v[0:1], v[0:1], 4, s[8:9]
	v_lshl_add_u64 v[0:1], v[16:17], 4, v[0:1]
	;; [unrolled: 1-line block ×3, first 2 shown]
	global_store_dwordx4 v[0:1], v[10:13], off
	s_mov_b64 s[4:5], 0
.LBB9_21:
	s_andn2_b64 vcc, exec, s[4:5]
	s_cbranch_vccnz .LBB9_23
; %bb.22:
	v_mul_lo_u32 v2, s11, v16
	v_mul_lo_u32 v3, s10, v17
	v_mad_u64_u32 v[0:1], s[2:3], s10, v16, 0
	v_add3_u32 v1, v1, v3, v2
	v_lshl_add_u64 v[0:1], v[0:1], 4, s[8:9]
	v_lshl_add_u64 v[0:1], v[14:15], 4, v[0:1]
	;; [unrolled: 1-line block ×3, first 2 shown]
	global_store_dwordx4 v[0:1], v[10:13], off
.LBB9_23:
	s_endpgm
	.section	.rodata,"a",@progbits
	.p2align	6, 0x0
	.amdhsa_kernel _ZN9rocsparse31csrmmnn_row_split_shared_kernelILj256ELj8E21rocsparse_complex_numIdEiiS2_S2_S2_EEvNS_24const_host_device_scalarIT1_EES5_bbbT3_S6_llPKT2_PKS6_PKT4_PKT5_llPT6_ll16rocsparse_order_21rocsparse_index_base_
		.amdhsa_group_segment_fixed_size 5120
		.amdhsa_private_segment_fixed_size 0
		.amdhsa_kernarg_size 144
		.amdhsa_user_sgpr_count 2
		.amdhsa_user_sgpr_dispatch_ptr 0
		.amdhsa_user_sgpr_queue_ptr 0
		.amdhsa_user_sgpr_kernarg_segment_ptr 1
		.amdhsa_user_sgpr_dispatch_id 0
		.amdhsa_user_sgpr_kernarg_preload_length 0
		.amdhsa_user_sgpr_kernarg_preload_offset 0
		.amdhsa_user_sgpr_private_segment_size 0
		.amdhsa_uses_dynamic_stack 0
		.amdhsa_enable_private_segment 0
		.amdhsa_system_sgpr_workgroup_id_x 1
		.amdhsa_system_sgpr_workgroup_id_y 1
		.amdhsa_system_sgpr_workgroup_id_z 1
		.amdhsa_system_sgpr_workgroup_info 0
		.amdhsa_system_vgpr_workitem_id 0
		.amdhsa_next_free_vgpr 92
		.amdhsa_next_free_sgpr 31
		.amdhsa_accum_offset 92
		.amdhsa_reserve_vcc 1
		.amdhsa_float_round_mode_32 0
		.amdhsa_float_round_mode_16_64 0
		.amdhsa_float_denorm_mode_32 3
		.amdhsa_float_denorm_mode_16_64 3
		.amdhsa_dx10_clamp 1
		.amdhsa_ieee_mode 1
		.amdhsa_fp16_overflow 0
		.amdhsa_tg_split 0
		.amdhsa_exception_fp_ieee_invalid_op 0
		.amdhsa_exception_fp_denorm_src 0
		.amdhsa_exception_fp_ieee_div_zero 0
		.amdhsa_exception_fp_ieee_overflow 0
		.amdhsa_exception_fp_ieee_underflow 0
		.amdhsa_exception_fp_ieee_inexact 0
		.amdhsa_exception_int_div_zero 0
	.end_amdhsa_kernel
	.section	.text._ZN9rocsparse31csrmmnn_row_split_shared_kernelILj256ELj8E21rocsparse_complex_numIdEiiS2_S2_S2_EEvNS_24const_host_device_scalarIT1_EES5_bbbT3_S6_llPKT2_PKS6_PKT4_PKT5_llPT6_ll16rocsparse_order_21rocsparse_index_base_,"axG",@progbits,_ZN9rocsparse31csrmmnn_row_split_shared_kernelILj256ELj8E21rocsparse_complex_numIdEiiS2_S2_S2_EEvNS_24const_host_device_scalarIT1_EES5_bbbT3_S6_llPKT2_PKS6_PKT4_PKT5_llPT6_ll16rocsparse_order_21rocsparse_index_base_,comdat
.Lfunc_end9:
	.size	_ZN9rocsparse31csrmmnn_row_split_shared_kernelILj256ELj8E21rocsparse_complex_numIdEiiS2_S2_S2_EEvNS_24const_host_device_scalarIT1_EES5_bbbT3_S6_llPKT2_PKS6_PKT4_PKT5_llPT6_ll16rocsparse_order_21rocsparse_index_base_, .Lfunc_end9-_ZN9rocsparse31csrmmnn_row_split_shared_kernelILj256ELj8E21rocsparse_complex_numIdEiiS2_S2_S2_EEvNS_24const_host_device_scalarIT1_EES5_bbbT3_S6_llPKT2_PKS6_PKT4_PKT5_llPT6_ll16rocsparse_order_21rocsparse_index_base_
                                        ; -- End function
	.set _ZN9rocsparse31csrmmnn_row_split_shared_kernelILj256ELj8E21rocsparse_complex_numIdEiiS2_S2_S2_EEvNS_24const_host_device_scalarIT1_EES5_bbbT3_S6_llPKT2_PKS6_PKT4_PKT5_llPT6_ll16rocsparse_order_21rocsparse_index_base_.num_vgpr, 92
	.set _ZN9rocsparse31csrmmnn_row_split_shared_kernelILj256ELj8E21rocsparse_complex_numIdEiiS2_S2_S2_EEvNS_24const_host_device_scalarIT1_EES5_bbbT3_S6_llPKT2_PKS6_PKT4_PKT5_llPT6_ll16rocsparse_order_21rocsparse_index_base_.num_agpr, 0
	.set _ZN9rocsparse31csrmmnn_row_split_shared_kernelILj256ELj8E21rocsparse_complex_numIdEiiS2_S2_S2_EEvNS_24const_host_device_scalarIT1_EES5_bbbT3_S6_llPKT2_PKS6_PKT4_PKT5_llPT6_ll16rocsparse_order_21rocsparse_index_base_.numbered_sgpr, 31
	.set _ZN9rocsparse31csrmmnn_row_split_shared_kernelILj256ELj8E21rocsparse_complex_numIdEiiS2_S2_S2_EEvNS_24const_host_device_scalarIT1_EES5_bbbT3_S6_llPKT2_PKS6_PKT4_PKT5_llPT6_ll16rocsparse_order_21rocsparse_index_base_.num_named_barrier, 0
	.set _ZN9rocsparse31csrmmnn_row_split_shared_kernelILj256ELj8E21rocsparse_complex_numIdEiiS2_S2_S2_EEvNS_24const_host_device_scalarIT1_EES5_bbbT3_S6_llPKT2_PKS6_PKT4_PKT5_llPT6_ll16rocsparse_order_21rocsparse_index_base_.private_seg_size, 0
	.set _ZN9rocsparse31csrmmnn_row_split_shared_kernelILj256ELj8E21rocsparse_complex_numIdEiiS2_S2_S2_EEvNS_24const_host_device_scalarIT1_EES5_bbbT3_S6_llPKT2_PKS6_PKT4_PKT5_llPT6_ll16rocsparse_order_21rocsparse_index_base_.uses_vcc, 1
	.set _ZN9rocsparse31csrmmnn_row_split_shared_kernelILj256ELj8E21rocsparse_complex_numIdEiiS2_S2_S2_EEvNS_24const_host_device_scalarIT1_EES5_bbbT3_S6_llPKT2_PKS6_PKT4_PKT5_llPT6_ll16rocsparse_order_21rocsparse_index_base_.uses_flat_scratch, 0
	.set _ZN9rocsparse31csrmmnn_row_split_shared_kernelILj256ELj8E21rocsparse_complex_numIdEiiS2_S2_S2_EEvNS_24const_host_device_scalarIT1_EES5_bbbT3_S6_llPKT2_PKS6_PKT4_PKT5_llPT6_ll16rocsparse_order_21rocsparse_index_base_.has_dyn_sized_stack, 0
	.set _ZN9rocsparse31csrmmnn_row_split_shared_kernelILj256ELj8E21rocsparse_complex_numIdEiiS2_S2_S2_EEvNS_24const_host_device_scalarIT1_EES5_bbbT3_S6_llPKT2_PKS6_PKT4_PKT5_llPT6_ll16rocsparse_order_21rocsparse_index_base_.has_recursion, 0
	.set _ZN9rocsparse31csrmmnn_row_split_shared_kernelILj256ELj8E21rocsparse_complex_numIdEiiS2_S2_S2_EEvNS_24const_host_device_scalarIT1_EES5_bbbT3_S6_llPKT2_PKS6_PKT4_PKT5_llPT6_ll16rocsparse_order_21rocsparse_index_base_.has_indirect_call, 0
	.section	.AMDGPU.csdata,"",@progbits
; Kernel info:
; codeLenInByte = 1804
; TotalNumSgprs: 37
; NumVgprs: 92
; NumAgprs: 0
; TotalNumVgprs: 92
; ScratchSize: 0
; MemoryBound: 0
; FloatMode: 240
; IeeeMode: 1
; LDSByteSize: 5120 bytes/workgroup (compile time only)
; SGPRBlocks: 4
; VGPRBlocks: 11
; NumSGPRsForWavesPerEU: 37
; NumVGPRsForWavesPerEU: 92
; AccumOffset: 92
; Occupancy: 5
; WaveLimiterHint : 1
; COMPUTE_PGM_RSRC2:SCRATCH_EN: 0
; COMPUTE_PGM_RSRC2:USER_SGPR: 2
; COMPUTE_PGM_RSRC2:TRAP_HANDLER: 0
; COMPUTE_PGM_RSRC2:TGID_X_EN: 1
; COMPUTE_PGM_RSRC2:TGID_Y_EN: 1
; COMPUTE_PGM_RSRC2:TGID_Z_EN: 1
; COMPUTE_PGM_RSRC2:TIDIG_COMP_CNT: 0
; COMPUTE_PGM_RSRC3_GFX90A:ACCUM_OFFSET: 22
; COMPUTE_PGM_RSRC3_GFX90A:TG_SPLIT: 0
	.section	.text._ZN9rocsparse31csrmmnn_row_split_shared_kernelILj256ELj8E21rocsparse_complex_numIdEliS2_S2_S2_EEvNS_24const_host_device_scalarIT1_EES5_bbbT3_S6_llPKT2_PKS6_PKT4_PKT5_llPT6_ll16rocsparse_order_21rocsparse_index_base_,"axG",@progbits,_ZN9rocsparse31csrmmnn_row_split_shared_kernelILj256ELj8E21rocsparse_complex_numIdEliS2_S2_S2_EEvNS_24const_host_device_scalarIT1_EES5_bbbT3_S6_llPKT2_PKS6_PKT4_PKT5_llPT6_ll16rocsparse_order_21rocsparse_index_base_,comdat
	.protected	_ZN9rocsparse31csrmmnn_row_split_shared_kernelILj256ELj8E21rocsparse_complex_numIdEliS2_S2_S2_EEvNS_24const_host_device_scalarIT1_EES5_bbbT3_S6_llPKT2_PKS6_PKT4_PKT5_llPT6_ll16rocsparse_order_21rocsparse_index_base_ ; -- Begin function _ZN9rocsparse31csrmmnn_row_split_shared_kernelILj256ELj8E21rocsparse_complex_numIdEliS2_S2_S2_EEvNS_24const_host_device_scalarIT1_EES5_bbbT3_S6_llPKT2_PKS6_PKT4_PKT5_llPT6_ll16rocsparse_order_21rocsparse_index_base_
	.globl	_ZN9rocsparse31csrmmnn_row_split_shared_kernelILj256ELj8E21rocsparse_complex_numIdEliS2_S2_S2_EEvNS_24const_host_device_scalarIT1_EES5_bbbT3_S6_llPKT2_PKS6_PKT4_PKT5_llPT6_ll16rocsparse_order_21rocsparse_index_base_
	.p2align	8
	.type	_ZN9rocsparse31csrmmnn_row_split_shared_kernelILj256ELj8E21rocsparse_complex_numIdEliS2_S2_S2_EEvNS_24const_host_device_scalarIT1_EES5_bbbT3_S6_llPKT2_PKS6_PKT4_PKT5_llPT6_ll16rocsparse_order_21rocsparse_index_base_,@function
_ZN9rocsparse31csrmmnn_row_split_shared_kernelILj256ELj8E21rocsparse_complex_numIdEliS2_S2_S2_EEvNS_24const_host_device_scalarIT1_EES5_bbbT3_S6_llPKT2_PKS6_PKT4_PKT5_llPT6_ll16rocsparse_order_21rocsparse_index_base_: ; @_ZN9rocsparse31csrmmnn_row_split_shared_kernelILj256ELj8E21rocsparse_complex_numIdEliS2_S2_S2_EEvNS_24const_host_device_scalarIT1_EES5_bbbT3_S6_llPKT2_PKS6_PKT4_PKT5_llPT6_ll16rocsparse_order_21rocsparse_index_base_
; %bb.0:
	s_load_dword s30, s[0:1], 0x20
	s_load_dwordx2 s[6:7], s[0:1], 0x0
	s_load_dwordx2 s[8:9], s[0:1], 0x10
	s_add_u32 s5, s0, 16
	s_addc_u32 s10, s1, 0
	s_waitcnt lgkmcnt(0)
	s_bitcmp1_b32 s30, 0
	s_cselect_b32 s7, s1, s7
	s_cselect_b32 s6, s0, s6
	v_mov_b32_e32 v2, s6
	v_mov_b32_e32 v3, s7
	flat_load_dwordx4 v[6:9], v[2:3]
	s_cselect_b32 s6, s10, s9
	s_cselect_b32 s5, s5, s8
	v_mov_b32_e32 v2, s5
	v_mov_b32_e32 v3, s6
	flat_load_dwordx4 v[2:5], v[2:3]
	s_waitcnt vmcnt(0) lgkmcnt(0)
	v_cmp_eq_f64_e32 vcc, 0, v[6:7]
	v_cmp_eq_f64_e64 s[6:7], 0, v[8:9]
	s_and_b64 s[10:11], vcc, s[6:7]
	s_mov_b64 s[6:7], -1
	s_and_saveexec_b64 s[8:9], s[10:11]
; %bb.1:
	v_cmp_neq_f64_e32 vcc, 1.0, v[2:3]
	v_cmp_neq_f64_e64 s[6:7], 0, v[4:5]
	s_or_b64 s[6:7], vcc, s[6:7]
	s_orn2_b64 s[6:7], s[6:7], exec
; %bb.2:
	s_or_b64 exec, exec, s[8:9]
	s_and_saveexec_b64 s[8:9], s[6:7]
	s_cbranch_execz .LBB10_23
; %bb.3:
	s_load_dwordx4 s[24:27], s[0:1], 0x20
	v_lshl_or_b32 v1, s2, 8, v0
	v_lshrrev_b32_e32 v14, 3, v1
	s_waitcnt lgkmcnt(0)
	v_cmp_gt_i32_e32 vcc, s25, v14
	s_and_b64 exec, exec, vcc
	s_cbranch_execz .LBB10_23
; %bb.4:
	s_load_dwordx16 s[8:23], s[0:1], 0x30
	s_ashr_i32 s5, s4, 31
	v_lshlrev_b32_e32 v1, 3, v14
	v_and_b32_e32 v18, 7, v0
	v_lshl_or_b32 v16, s3, 3, v18
	s_waitcnt lgkmcnt(0)
	s_mul_hi_u32 s2, s8, s4
	s_mul_i32 s7, s8, s5
	s_mul_i32 s9, s9, s4
	s_add_i32 s2, s2, s7
	s_mul_i32 s6, s8, s4
	s_add_i32 s7, s2, s9
	s_lshl_b64 s[6:7], s[6:7], 3
	s_add_u32 s6, s12, s6
	s_addc_u32 s7, s13, s7
	global_load_dwordx4 v[10:13], v1, s[6:7]
	s_load_dwordx2 s[12:13], s[0:1], 0x88
	v_mov_b32_e32 v15, 0
	v_mov_b64_e32 v[22:23], 0
	v_ashrrev_i32_e32 v17, 31, v16
	v_mov_b64_e32 v[30:31], 0
	s_waitcnt vmcnt(0)
	v_cmp_lt_i64_e32 vcc, v[10:11], v[12:13]
	s_and_saveexec_b64 s[28:29], vcc
	s_cbranch_execz .LBB10_12
; %bb.5:
	s_waitcnt lgkmcnt(0)
	v_subrev_co_u32_e32 v20, vcc, s13, v12
	v_lshrrev_b32_e32 v28, 3, v0
	s_nop 0
	v_subbrev_co_u32_e32 v21, vcc, 0, v13, vcc
	s_bitcmp1_b32 s30, 8
	v_subrev_co_u32_e64 v0, s[6:7], s13, v10
	s_cselect_b64 vcc, -1, 0
	s_bitcmp1_b32 s24, 16
	v_subbrev_co_u32_e64 v1, s[6:7], 0, v11, s[6:7]
	v_mul_lo_u32 v19, s21, v16
	v_mul_lo_u32 v29, s20, v17
	v_mad_u64_u32 v[26:27], s[6:7], s20, v16, 0
	s_mul_i32 s8, s22, s5
	s_mul_hi_u32 s9, s22, s4
	s_cselect_b64 s[2:3], -1, 0
	v_mov_b32_e32 v24, s18
	v_mov_b32_e32 v25, s19
	v_add3_u32 v27, v27, v29, v19
	s_add_i32 s8, s9, s8
	s_mul_i32 s9, s23, s4
	s_add_i32 s9, s8, s9
	s_mul_i32 s8, s22, s4
	v_lshl_add_u64 v[24:25], v[26:27], 4, v[24:25]
	v_lshl_add_u64 v[24:25], s[8:9], 4, v[24:25]
	s_mul_i32 s8, s11, s4
	s_mul_i32 s9, s10, s5
	v_mov_b32_e32 v26, s4
	s_add_i32 s11, s9, s8
	v_mad_u64_u32 v[10:11], s[8:9], s10, v26, v[10:11]
	v_mov_b32_e32 v19, v15
	v_add_u32_e32 v11, s11, v11
	v_lshl_add_u64 v[10:11], v[10:11], 0, v[18:19]
	v_subrev_co_u32_e64 v10, s[8:9], s13, v10
	v_mov_b32_e32 v12, s14
	v_mov_b32_e32 v13, s15
	;; [unrolled: 1-line block ×5, first 2 shown]
	v_subbrev_co_u32_e64 v11, s[8:9], 0, v11, s[8:9]
	v_lshl_or_b32 v32, v28, 5, v29
	v_lshlrev_b32_e32 v34, 7, v28
	v_lshl_add_u64 v[26:27], v[10:11], 2, v[12:13]
	v_lshl_add_u64 v[10:11], v[10:11], 4, v[22:23]
	v_lshl_or_b32 v33, v18, 2, v32
	v_lshl_or_b32 v35, v18, 4, v34
	v_cmp_gt_i32_e64 s[6:7], s26, v16
	v_lshl_add_u64 v[28:29], v[10:11], 0, 8
	v_mov_b64_e32 v[22:23], 0
	s_mov_b64 s[10:11], 0
	s_mov_b64 s[14:15], 0x80
	v_mov_b64_e32 v[30:31], 0
	s_branch .LBB10_7
.LBB10_6:                               ;   in Loop: Header=BB10_7 Depth=1
	s_or_b64 exec, exec, s[8:9]
	v_lshl_add_u64 v[0:1], v[0:1], 0, 8
	v_cmp_ge_i64_e64 s[8:9], v[0:1], v[20:21]
	v_lshl_add_u64 v[26:27], v[26:27], 0, 32
	s_or_b64 s[10:11], s[8:9], s[10:11]
	v_lshl_add_u64 v[28:29], v[28:29], 0, s[14:15]
	s_andn2_b64 exec, exec, s[10:11]
	s_cbranch_execz .LBB10_11
.LBB10_7:                               ; =>This Inner Loop Header: Depth=1
	v_lshl_add_u64 v[10:11], v[18:19], 0, v[0:1]
	v_cmp_lt_i64_e64 s[8:9], v[10:11], v[20:21]
	v_mov_b32_e32 v36, 0
	v_mov_b64_e32 v[10:11], 0
	v_mov_b64_e32 v[12:13], 0
	s_barrier
	s_and_saveexec_b64 s[16:17], s[8:9]
	s_cbranch_execz .LBB10_9
; %bb.8:                                ;   in Loop: Header=BB10_7 Depth=1
	global_load_dword v36, v[26:27], off
	global_load_dwordx4 v[10:13], v[28:29], off offset:-8
	s_waitcnt vmcnt(1)
	v_subrev_u32_e32 v36, s13, v36
	s_waitcnt vmcnt(0)
	v_xor_b32_e32 v37, 0x80000000, v13
	v_cndmask_b32_e32 v13, v13, v37, vcc
.LBB10_9:                               ;   in Loop: Header=BB10_7 Depth=1
	s_or_b64 exec, exec, s[16:17]
	ds_write_b32 v33, v36
	ds_write_b128 v35, v[10:13]
	s_waitcnt lgkmcnt(0)
	s_barrier
	s_and_saveexec_b64 s[8:9], s[6:7]
	s_cbranch_execz .LBB10_6
; %bb.10:                               ;   in Loop: Header=BB10_7 Depth=1
	ds_read_b128 v[10:13], v32
	ds_read_b128 v[36:39], v32 offset:16
	s_waitcnt lgkmcnt(1)
	v_ashrrev_i32_e32 v41, 31, v10
	v_mov_b32_e32 v40, v10
	v_ashrrev_i32_e32 v43, 31, v11
	v_mov_b32_e32 v42, v11
	v_lshl_add_u64 v[10:11], v[40:41], 4, v[24:25]
	v_lshl_add_u64 v[48:49], v[42:43], 4, v[24:25]
	global_load_dwordx4 v[40:43], v[10:11], off
	global_load_dwordx4 v[44:47], v[48:49], off
	v_ashrrev_i32_e32 v11, 31, v12
	v_mov_b32_e32 v10, v12
	v_lshl_add_u64 v[52:53], v[10:11], 4, v[24:25]
	v_ashrrev_i32_e32 v11, 31, v13
	v_mov_b32_e32 v10, v13
	v_lshl_add_u64 v[54:55], v[10:11], 4, v[24:25]
	global_load_dwordx4 v[10:13], v[52:53], off
	global_load_dwordx4 v[48:51], v[54:55], off
	s_waitcnt lgkmcnt(0)
	v_ashrrev_i32_e32 v53, 31, v36
	v_mov_b32_e32 v52, v36
	v_lshl_add_u64 v[60:61], v[52:53], 4, v[24:25]
	v_ashrrev_i32_e32 v53, 31, v37
	v_mov_b32_e32 v52, v37
	v_lshl_add_u64 v[36:37], v[52:53], 4, v[24:25]
	global_load_dwordx4 v[52:55], v[60:61], off
	global_load_dwordx4 v[56:59], v[36:37], off
	v_ashrrev_i32_e32 v37, 31, v38
	v_mov_b32_e32 v36, v38
	v_lshl_add_u64 v[64:65], v[36:37], 4, v[24:25]
	v_ashrrev_i32_e32 v37, 31, v39
	v_mov_b32_e32 v36, v39
	v_lshl_add_u64 v[66:67], v[36:37], 4, v[24:25]
	global_load_dwordx4 v[36:39], v[64:65], off
	global_load_dwordx4 v[60:63], v[66:67], off
	ds_read_b128 v[64:67], v34
	ds_read_b128 v[68:71], v34 offset:16
	ds_read_b128 v[72:75], v34 offset:32
	;; [unrolled: 1-line block ×7, first 2 shown]
	s_waitcnt vmcnt(7)
	v_xor_b32_e32 v96, 0x80000000, v43
	s_waitcnt lgkmcnt(7)
	v_fmac_f64_e32 v[30:31], v[64:65], v[40:41]
	v_fmac_f64_e32 v[22:23], v[66:67], v[40:41]
	v_cndmask_b32_e64 v43, v43, v96, s[2:3]
	s_waitcnt vmcnt(6)
	v_xor_b32_e32 v40, 0x80000000, v47
	v_fma_f64 v[30:31], -v[66:67], v[42:43], v[30:31]
	v_fmac_f64_e32 v[22:23], v[64:65], v[42:43]
	v_cndmask_b32_e64 v47, v47, v40, s[2:3]
	s_waitcnt lgkmcnt(6)
	v_fmac_f64_e32 v[30:31], v[68:69], v[44:45]
	v_fmac_f64_e32 v[22:23], v[70:71], v[44:45]
	s_waitcnt vmcnt(5)
	v_xor_b32_e32 v41, 0x80000000, v13
	v_fma_f64 v[30:31], -v[70:71], v[46:47], v[30:31]
	v_fmac_f64_e32 v[22:23], v[68:69], v[46:47]
	v_cndmask_b32_e64 v13, v13, v41, s[2:3]
	s_waitcnt lgkmcnt(5)
	v_fmac_f64_e32 v[30:31], v[72:73], v[10:11]
	v_fmac_f64_e32 v[22:23], v[74:75], v[10:11]
	;; [unrolled: 8-line block ×7, first 2 shown]
	v_fma_f64 v[30:31], -v[94:95], v[62:63], v[10:11]
	v_fmac_f64_e32 v[22:23], v[92:93], v[62:63]
	s_branch .LBB10_6
.LBB10_11:
	s_or_b64 exec, exec, s[10:11]
.LBB10_12:
	s_or_b64 exec, exec, s[28:29]
	v_cmp_gt_i32_e32 vcc, s26, v16
	s_and_b64 exec, exec, vcc
	s_cbranch_execz .LBB10_23
; %bb.13:
	s_load_dwordx4 s[8:11], s[0:1], 0x70
	s_load_dwordx2 s[6:7], s[0:1], 0x80
	v_cmp_neq_f64_e32 vcc, 0, v[2:3]
	v_cmp_neq_f64_e64 s[0:1], 0, v[4:5]
	s_or_b64 s[16:17], vcc, s[0:1]
	s_waitcnt lgkmcnt(0)
	s_cmp_lg_u32 s12, 1
	v_mul_f64 v[10:11], v[22:23], -v[8:9]
	v_mul_f64 v[12:13], v[6:7], v[22:23]
	s_cselect_b64 s[2:3], -1, 0
	s_mul_i32 s12, s6, s5
	s_mul_hi_u32 s13, s6, s4
	s_mul_i32 s14, s7, s4
	s_mul_i32 s0, s6, s4
	v_fmac_f64_e32 v[10:11], v[6:7], v[30:31]
	v_fmac_f64_e32 v[12:13], v[8:9], v[30:31]
	s_and_saveexec_b64 s[4:5], s[16:17]
	s_xor_b64 s[4:5], exec, s[4:5]
	s_cbranch_execz .LBB10_18
; %bb.14:
	s_add_i32 s1, s13, s12
	s_add_i32 s1, s1, s14
	s_mov_b64 s[6:7], -1
	s_and_b64 vcc, exec, s[2:3]
	s_cbranch_vccz .LBB10_16
; %bb.15:
	v_mad_u64_u32 v[0:1], s[6:7], s10, v14, 0
	v_mov_b32_e32 v6, v1
	v_mad_u64_u32 v[6:7], s[6:7], s11, v14, v[6:7]
	v_mov_b32_e32 v1, v6
	v_lshl_add_u64 v[0:1], v[0:1], 4, s[8:9]
	v_lshl_add_u64 v[0:1], v[16:17], 4, v[0:1]
	;; [unrolled: 1-line block ×3, first 2 shown]
	global_load_dwordx4 v[6:9], v[0:1], off
	s_mov_b64 s[6:7], 0
	s_waitcnt vmcnt(0)
	v_fma_f64 v[18:19], v[2:3], v[6:7], v[10:11]
	v_fma_f64 v[20:21], v[4:5], v[6:7], v[12:13]
	v_fma_f64 v[18:19], -v[4:5], v[8:9], v[18:19]
	v_fmac_f64_e32 v[20:21], v[2:3], v[8:9]
	global_store_dwordx4 v[0:1], v[18:21], off
.LBB10_16:
	s_andn2_b64 vcc, exec, s[6:7]
	s_cbranch_vccnz .LBB10_18
; %bb.17:
	v_mul_lo_u32 v6, s11, v16
	v_mul_lo_u32 v7, s10, v17
	v_mad_u64_u32 v[0:1], s[6:7], s10, v16, 0
	v_add3_u32 v1, v1, v7, v6
	v_lshl_add_u64 v[0:1], v[0:1], 4, s[8:9]
	v_lshl_add_u64 v[0:1], v[14:15], 4, v[0:1]
	v_lshl_add_u64 v[0:1], s[0:1], 4, v[0:1]
	global_load_dwordx4 v[6:9], v[0:1], off
                                        ; implicit-def: $vgpr16_vgpr17
                                        ; implicit-def: $vgpr14_vgpr15
	s_waitcnt vmcnt(0)
	v_fmac_f64_e32 v[10:11], v[2:3], v[6:7]
	v_fmac_f64_e32 v[12:13], v[4:5], v[6:7]
	v_fma_f64 v[10:11], -v[4:5], v[8:9], v[10:11]
	v_fmac_f64_e32 v[12:13], v[2:3], v[8:9]
	global_store_dwordx4 v[0:1], v[10:13], off
                                        ; implicit-def: $vgpr10_vgpr11
.LBB10_18:
	s_andn2_saveexec_b64 s[4:5], s[4:5]
	s_cbranch_execz .LBB10_23
; %bb.19:
	s_add_i32 s1, s13, s12
	s_add_i32 s1, s1, s14
	s_mov_b64 s[4:5], -1
	s_and_b64 vcc, exec, s[2:3]
	s_cbranch_vccz .LBB10_21
; %bb.20:
	v_mad_u64_u32 v[0:1], s[2:3], s10, v14, 0
	v_mov_b32_e32 v2, v1
	v_mad_u64_u32 v[2:3], s[2:3], s11, v14, v[2:3]
	v_mov_b32_e32 v1, v2
	v_lshl_add_u64 v[0:1], v[0:1], 4, s[8:9]
	v_lshl_add_u64 v[0:1], v[16:17], 4, v[0:1]
	;; [unrolled: 1-line block ×3, first 2 shown]
	global_store_dwordx4 v[0:1], v[10:13], off
	s_mov_b64 s[4:5], 0
.LBB10_21:
	s_andn2_b64 vcc, exec, s[4:5]
	s_cbranch_vccnz .LBB10_23
; %bb.22:
	v_mul_lo_u32 v2, s11, v16
	v_mul_lo_u32 v3, s10, v17
	v_mad_u64_u32 v[0:1], s[2:3], s10, v16, 0
	v_add3_u32 v1, v1, v3, v2
	v_lshl_add_u64 v[0:1], v[0:1], 4, s[8:9]
	v_lshl_add_u64 v[0:1], v[14:15], 4, v[0:1]
	;; [unrolled: 1-line block ×3, first 2 shown]
	global_store_dwordx4 v[0:1], v[10:13], off
.LBB10_23:
	s_endpgm
	.section	.rodata,"a",@progbits
	.p2align	6, 0x0
	.amdhsa_kernel _ZN9rocsparse31csrmmnn_row_split_shared_kernelILj256ELj8E21rocsparse_complex_numIdEliS2_S2_S2_EEvNS_24const_host_device_scalarIT1_EES5_bbbT3_S6_llPKT2_PKS6_PKT4_PKT5_llPT6_ll16rocsparse_order_21rocsparse_index_base_
		.amdhsa_group_segment_fixed_size 5120
		.amdhsa_private_segment_fixed_size 0
		.amdhsa_kernarg_size 144
		.amdhsa_user_sgpr_count 2
		.amdhsa_user_sgpr_dispatch_ptr 0
		.amdhsa_user_sgpr_queue_ptr 0
		.amdhsa_user_sgpr_kernarg_segment_ptr 1
		.amdhsa_user_sgpr_dispatch_id 0
		.amdhsa_user_sgpr_kernarg_preload_length 0
		.amdhsa_user_sgpr_kernarg_preload_offset 0
		.amdhsa_user_sgpr_private_segment_size 0
		.amdhsa_uses_dynamic_stack 0
		.amdhsa_enable_private_segment 0
		.amdhsa_system_sgpr_workgroup_id_x 1
		.amdhsa_system_sgpr_workgroup_id_y 1
		.amdhsa_system_sgpr_workgroup_id_z 1
		.amdhsa_system_sgpr_workgroup_info 0
		.amdhsa_system_vgpr_workitem_id 0
		.amdhsa_next_free_vgpr 102
		.amdhsa_next_free_sgpr 31
		.amdhsa_accum_offset 104
		.amdhsa_reserve_vcc 1
		.amdhsa_float_round_mode_32 0
		.amdhsa_float_round_mode_16_64 0
		.amdhsa_float_denorm_mode_32 3
		.amdhsa_float_denorm_mode_16_64 3
		.amdhsa_dx10_clamp 1
		.amdhsa_ieee_mode 1
		.amdhsa_fp16_overflow 0
		.amdhsa_tg_split 0
		.amdhsa_exception_fp_ieee_invalid_op 0
		.amdhsa_exception_fp_denorm_src 0
		.amdhsa_exception_fp_ieee_div_zero 0
		.amdhsa_exception_fp_ieee_overflow 0
		.amdhsa_exception_fp_ieee_underflow 0
		.amdhsa_exception_fp_ieee_inexact 0
		.amdhsa_exception_int_div_zero 0
	.end_amdhsa_kernel
	.section	.text._ZN9rocsparse31csrmmnn_row_split_shared_kernelILj256ELj8E21rocsparse_complex_numIdEliS2_S2_S2_EEvNS_24const_host_device_scalarIT1_EES5_bbbT3_S6_llPKT2_PKS6_PKT4_PKT5_llPT6_ll16rocsparse_order_21rocsparse_index_base_,"axG",@progbits,_ZN9rocsparse31csrmmnn_row_split_shared_kernelILj256ELj8E21rocsparse_complex_numIdEliS2_S2_S2_EEvNS_24const_host_device_scalarIT1_EES5_bbbT3_S6_llPKT2_PKS6_PKT4_PKT5_llPT6_ll16rocsparse_order_21rocsparse_index_base_,comdat
.Lfunc_end10:
	.size	_ZN9rocsparse31csrmmnn_row_split_shared_kernelILj256ELj8E21rocsparse_complex_numIdEliS2_S2_S2_EEvNS_24const_host_device_scalarIT1_EES5_bbbT3_S6_llPKT2_PKS6_PKT4_PKT5_llPT6_ll16rocsparse_order_21rocsparse_index_base_, .Lfunc_end10-_ZN9rocsparse31csrmmnn_row_split_shared_kernelILj256ELj8E21rocsparse_complex_numIdEliS2_S2_S2_EEvNS_24const_host_device_scalarIT1_EES5_bbbT3_S6_llPKT2_PKS6_PKT4_PKT5_llPT6_ll16rocsparse_order_21rocsparse_index_base_
                                        ; -- End function
	.set _ZN9rocsparse31csrmmnn_row_split_shared_kernelILj256ELj8E21rocsparse_complex_numIdEliS2_S2_S2_EEvNS_24const_host_device_scalarIT1_EES5_bbbT3_S6_llPKT2_PKS6_PKT4_PKT5_llPT6_ll16rocsparse_order_21rocsparse_index_base_.num_vgpr, 102
	.set _ZN9rocsparse31csrmmnn_row_split_shared_kernelILj256ELj8E21rocsparse_complex_numIdEliS2_S2_S2_EEvNS_24const_host_device_scalarIT1_EES5_bbbT3_S6_llPKT2_PKS6_PKT4_PKT5_llPT6_ll16rocsparse_order_21rocsparse_index_base_.num_agpr, 0
	.set _ZN9rocsparse31csrmmnn_row_split_shared_kernelILj256ELj8E21rocsparse_complex_numIdEliS2_S2_S2_EEvNS_24const_host_device_scalarIT1_EES5_bbbT3_S6_llPKT2_PKS6_PKT4_PKT5_llPT6_ll16rocsparse_order_21rocsparse_index_base_.numbered_sgpr, 31
	.set _ZN9rocsparse31csrmmnn_row_split_shared_kernelILj256ELj8E21rocsparse_complex_numIdEliS2_S2_S2_EEvNS_24const_host_device_scalarIT1_EES5_bbbT3_S6_llPKT2_PKS6_PKT4_PKT5_llPT6_ll16rocsparse_order_21rocsparse_index_base_.num_named_barrier, 0
	.set _ZN9rocsparse31csrmmnn_row_split_shared_kernelILj256ELj8E21rocsparse_complex_numIdEliS2_S2_S2_EEvNS_24const_host_device_scalarIT1_EES5_bbbT3_S6_llPKT2_PKS6_PKT4_PKT5_llPT6_ll16rocsparse_order_21rocsparse_index_base_.private_seg_size, 0
	.set _ZN9rocsparse31csrmmnn_row_split_shared_kernelILj256ELj8E21rocsparse_complex_numIdEliS2_S2_S2_EEvNS_24const_host_device_scalarIT1_EES5_bbbT3_S6_llPKT2_PKS6_PKT4_PKT5_llPT6_ll16rocsparse_order_21rocsparse_index_base_.uses_vcc, 1
	.set _ZN9rocsparse31csrmmnn_row_split_shared_kernelILj256ELj8E21rocsparse_complex_numIdEliS2_S2_S2_EEvNS_24const_host_device_scalarIT1_EES5_bbbT3_S6_llPKT2_PKS6_PKT4_PKT5_llPT6_ll16rocsparse_order_21rocsparse_index_base_.uses_flat_scratch, 0
	.set _ZN9rocsparse31csrmmnn_row_split_shared_kernelILj256ELj8E21rocsparse_complex_numIdEliS2_S2_S2_EEvNS_24const_host_device_scalarIT1_EES5_bbbT3_S6_llPKT2_PKS6_PKT4_PKT5_llPT6_ll16rocsparse_order_21rocsparse_index_base_.has_dyn_sized_stack, 0
	.set _ZN9rocsparse31csrmmnn_row_split_shared_kernelILj256ELj8E21rocsparse_complex_numIdEliS2_S2_S2_EEvNS_24const_host_device_scalarIT1_EES5_bbbT3_S6_llPKT2_PKS6_PKT4_PKT5_llPT6_ll16rocsparse_order_21rocsparse_index_base_.has_recursion, 0
	.set _ZN9rocsparse31csrmmnn_row_split_shared_kernelILj256ELj8E21rocsparse_complex_numIdEliS2_S2_S2_EEvNS_24const_host_device_scalarIT1_EES5_bbbT3_S6_llPKT2_PKS6_PKT4_PKT5_llPT6_ll16rocsparse_order_21rocsparse_index_base_.has_indirect_call, 0
	.section	.AMDGPU.csdata,"",@progbits
; Kernel info:
; codeLenInByte = 1900
; TotalNumSgprs: 37
; NumVgprs: 102
; NumAgprs: 0
; TotalNumVgprs: 102
; ScratchSize: 0
; MemoryBound: 1
; FloatMode: 240
; IeeeMode: 1
; LDSByteSize: 5120 bytes/workgroup (compile time only)
; SGPRBlocks: 4
; VGPRBlocks: 12
; NumSGPRsForWavesPerEU: 37
; NumVGPRsForWavesPerEU: 102
; AccumOffset: 104
; Occupancy: 4
; WaveLimiterHint : 1
; COMPUTE_PGM_RSRC2:SCRATCH_EN: 0
; COMPUTE_PGM_RSRC2:USER_SGPR: 2
; COMPUTE_PGM_RSRC2:TRAP_HANDLER: 0
; COMPUTE_PGM_RSRC2:TGID_X_EN: 1
; COMPUTE_PGM_RSRC2:TGID_Y_EN: 1
; COMPUTE_PGM_RSRC2:TGID_Z_EN: 1
; COMPUTE_PGM_RSRC2:TIDIG_COMP_CNT: 0
; COMPUTE_PGM_RSRC3_GFX90A:ACCUM_OFFSET: 25
; COMPUTE_PGM_RSRC3_GFX90A:TG_SPLIT: 0
	.section	.text._ZN9rocsparse31csrmmnn_row_split_shared_kernelILj256ELj8E21rocsparse_complex_numIdEllS2_S2_S2_EEvNS_24const_host_device_scalarIT1_EES5_bbbT3_S6_llPKT2_PKS6_PKT4_PKT5_llPT6_ll16rocsparse_order_21rocsparse_index_base_,"axG",@progbits,_ZN9rocsparse31csrmmnn_row_split_shared_kernelILj256ELj8E21rocsparse_complex_numIdEllS2_S2_S2_EEvNS_24const_host_device_scalarIT1_EES5_bbbT3_S6_llPKT2_PKS6_PKT4_PKT5_llPT6_ll16rocsparse_order_21rocsparse_index_base_,comdat
	.protected	_ZN9rocsparse31csrmmnn_row_split_shared_kernelILj256ELj8E21rocsparse_complex_numIdEllS2_S2_S2_EEvNS_24const_host_device_scalarIT1_EES5_bbbT3_S6_llPKT2_PKS6_PKT4_PKT5_llPT6_ll16rocsparse_order_21rocsparse_index_base_ ; -- Begin function _ZN9rocsparse31csrmmnn_row_split_shared_kernelILj256ELj8E21rocsparse_complex_numIdEllS2_S2_S2_EEvNS_24const_host_device_scalarIT1_EES5_bbbT3_S6_llPKT2_PKS6_PKT4_PKT5_llPT6_ll16rocsparse_order_21rocsparse_index_base_
	.globl	_ZN9rocsparse31csrmmnn_row_split_shared_kernelILj256ELj8E21rocsparse_complex_numIdEllS2_S2_S2_EEvNS_24const_host_device_scalarIT1_EES5_bbbT3_S6_llPKT2_PKS6_PKT4_PKT5_llPT6_ll16rocsparse_order_21rocsparse_index_base_
	.p2align	8
	.type	_ZN9rocsparse31csrmmnn_row_split_shared_kernelILj256ELj8E21rocsparse_complex_numIdEllS2_S2_S2_EEvNS_24const_host_device_scalarIT1_EES5_bbbT3_S6_llPKT2_PKS6_PKT4_PKT5_llPT6_ll16rocsparse_order_21rocsparse_index_base_,@function
_ZN9rocsparse31csrmmnn_row_split_shared_kernelILj256ELj8E21rocsparse_complex_numIdEllS2_S2_S2_EEvNS_24const_host_device_scalarIT1_EES5_bbbT3_S6_llPKT2_PKS6_PKT4_PKT5_llPT6_ll16rocsparse_order_21rocsparse_index_base_: ; @_ZN9rocsparse31csrmmnn_row_split_shared_kernelILj256ELj8E21rocsparse_complex_numIdEllS2_S2_S2_EEvNS_24const_host_device_scalarIT1_EES5_bbbT3_S6_llPKT2_PKS6_PKT4_PKT5_llPT6_ll16rocsparse_order_21rocsparse_index_base_
; %bb.0:
	s_load_dword s33, s[0:1], 0x20
	s_load_dwordx2 s[6:7], s[0:1], 0x0
	s_load_dwordx2 s[8:9], s[0:1], 0x10
	s_add_u32 s5, s0, 16
	s_addc_u32 s10, s1, 0
	s_waitcnt lgkmcnt(0)
	s_bitcmp1_b32 s33, 0
	s_cselect_b32 s7, s1, s7
	s_cselect_b32 s6, s0, s6
	v_mov_b32_e32 v2, s6
	v_mov_b32_e32 v3, s7
	flat_load_dwordx4 v[6:9], v[2:3]
	s_cselect_b32 s6, s10, s9
	s_cselect_b32 s5, s5, s8
	v_mov_b32_e32 v2, s5
	v_mov_b32_e32 v3, s6
	flat_load_dwordx4 v[2:5], v[2:3]
	s_waitcnt vmcnt(0) lgkmcnt(0)
	v_cmp_eq_f64_e32 vcc, 0, v[6:7]
	v_cmp_eq_f64_e64 s[6:7], 0, v[8:9]
	s_and_b64 s[10:11], vcc, s[6:7]
	s_mov_b64 s[6:7], -1
	s_and_saveexec_b64 s[8:9], s[10:11]
; %bb.1:
	v_cmp_neq_f64_e32 vcc, 1.0, v[2:3]
	v_cmp_neq_f64_e64 s[6:7], 0, v[4:5]
	s_or_b64 s[6:7], vcc, s[6:7]
	s_orn2_b64 s[6:7], s[6:7], exec
; %bb.2:
	s_or_b64 exec, exec, s[8:9]
	s_and_saveexec_b64 s[8:9], s[6:7]
	s_cbranch_execz .LBB11_23
; %bb.3:
	s_load_dwordx16 s[8:23], s[0:1], 0x28
	v_lshl_or_b32 v1, s2, 8, v0
	v_lshrrev_b32_e32 v14, 3, v1
	v_mov_b32_e32 v15, 0
	s_waitcnt lgkmcnt(0)
	v_cmp_gt_i64_e32 vcc, s[8:9], v[14:15]
	s_and_b64 exec, exec, vcc
	s_cbranch_execz .LBB11_23
; %bb.4:
	s_mul_i32 s2, s13, s4
	s_mul_hi_u32 s5, s12, s4
	s_add_i32 s7, s5, s2
	s_mul_i32 s6, s12, s4
	s_lshl_b64 s[6:7], s[6:7], 3
	s_add_u32 s6, s16, s6
	s_addc_u32 s7, s17, s7
	v_lshlrev_b32_e32 v1, 3, v14
	global_load_dwordx4 v[10:13], v1, s[6:7]
	s_load_dwordx8 s[24:31], s[0:1], 0x68
	s_load_dwordx4 s[36:39], s[0:1], 0x88
	v_and_b32_e32 v18, 7, v0
	v_mov_b32_e32 v17, v15
	v_mov_b64_e32 v[22:23], 0
	v_lshl_or_b32 v16, s3, 3, v18
	v_mov_b64_e32 v[30:31], 0
	s_waitcnt vmcnt(0)
	v_cmp_lt_i64_e32 vcc, v[10:11], v[12:13]
	s_and_saveexec_b64 s[8:9], vcc
	s_cbranch_execz .LBB11_12
; %bb.5:
	v_lshrrev_b32_e32 v30, 3, v0
	s_waitcnt lgkmcnt(0)
	v_subrev_co_u32_e64 v0, s[2:3], s39, v10
	v_subrev_co_u32_e32 v20, vcc, s39, v12
	s_nop 0
	v_subbrev_co_u32_e64 v1, s[2:3], 0, v11, s[2:3]
	v_mad_u64_u32 v[26:27], s[2:3], s24, v16, 0
	v_mov_b32_e32 v28, v27
	v_subbrev_co_u32_e32 v21, vcc, 0, v13, vcc
	s_bitcmp1_b32 s33, 8
	v_mad_u64_u32 v[28:29], s[2:3], s25, v16, v[28:29]
	s_cselect_b64 vcc, -1, 0
	s_bitcmp1_b32 s33, 16
	v_mov_b32_e32 v24, s22
	v_mov_b32_e32 v25, s23
	;; [unrolled: 1-line block ×3, first 2 shown]
	s_mul_i32 s6, s27, s4
	s_mul_hi_u32 s7, s26, s4
	s_cselect_b64 s[0:1], -1, 0
	s_add_i32 s7, s7, s6
	s_mul_i32 s6, s26, s4
	v_lshl_add_u64 v[24:25], v[26:27], 4, v[24:25]
	v_mov_b32_e32 v26, s4
	v_lshl_add_u64 v[24:25], s[6:7], 4, v[24:25]
	v_mad_u64_u32 v[10:11], s[6:7], s14, v26, v[10:11]
	s_mul_i32 s6, s15, s4
	v_mov_b32_e32 v19, 0
	v_add_u32_e32 v11, s6, v11
	v_lshl_add_u64 v[10:11], v[10:11], 0, v[18:19]
	v_subrev_co_u32_e64 v10, s[6:7], s39, v10
	v_mov_b32_e32 v12, s18
	v_mov_b32_e32 v13, s19
	;; [unrolled: 1-line block ×5, first 2 shown]
	v_subbrev_co_u32_e64 v11, s[6:7], 0, v11, s[6:7]
	v_lshl_or_b32 v34, v30, 6, v28
	v_lshlrev_b32_e32 v36, 7, v30
	v_lshl_add_u64 v[26:27], v[10:11], 3, v[12:13]
	v_lshl_add_u64 v[10:11], v[10:11], 4, v[22:23]
	s_mov_b32 s5, s39
	v_lshl_or_b32 v35, v18, 3, v34
	v_lshl_or_b32 v37, v18, 4, v36
	v_cmp_gt_i64_e64 s[2:3], s[10:11], v[16:17]
	v_lshl_add_u64 v[28:29], v[10:11], 0, 8
	v_mov_b64_e32 v[22:23], 0
	s_mov_b64 s[12:13], 0
	s_mov_b64 s[14:15], 0x80
	v_mov_b64_e32 v[30:31], 0
	s_branch .LBB11_7
.LBB11_6:                               ;   in Loop: Header=BB11_7 Depth=1
	s_or_b64 exec, exec, s[6:7]
	v_lshl_add_u64 v[0:1], v[0:1], 0, 8
	v_cmp_ge_i64_e64 s[6:7], v[0:1], v[20:21]
	v_lshl_add_u64 v[26:27], v[26:27], 0, 64
	s_or_b64 s[12:13], s[6:7], s[12:13]
	v_lshl_add_u64 v[28:29], v[28:29], 0, s[14:15]
	s_andn2_b64 exec, exec, s[12:13]
	s_cbranch_execz .LBB11_11
.LBB11_7:                               ; =>This Inner Loop Header: Depth=1
	v_lshl_add_u64 v[10:11], v[18:19], 0, v[0:1]
	v_cmp_lt_i64_e64 s[6:7], v[10:11], v[20:21]
	v_mov_b64_e32 v[32:33], 0
	v_mov_b64_e32 v[10:11], 0
	;; [unrolled: 1-line block ×3, first 2 shown]
	s_barrier
	s_and_saveexec_b64 s[16:17], s[6:7]
	s_cbranch_execz .LBB11_9
; %bb.8:                                ;   in Loop: Header=BB11_7 Depth=1
	global_load_dwordx2 v[32:33], v[26:27], off
	global_load_dwordx4 v[10:13], v[28:29], off offset:-8
	s_waitcnt vmcnt(1)
	v_subrev_co_u32_e64 v32, s[6:7], s5, v32
	s_waitcnt vmcnt(0)
	v_xor_b32_e32 v38, 0x80000000, v13
	v_subbrev_co_u32_e64 v33, s[6:7], 0, v33, s[6:7]
	v_cndmask_b32_e32 v13, v13, v38, vcc
.LBB11_9:                               ;   in Loop: Header=BB11_7 Depth=1
	s_or_b64 exec, exec, s[16:17]
	ds_write_b64 v35, v[32:33]
	ds_write_b128 v37, v[10:13]
	s_waitcnt lgkmcnt(0)
	s_barrier
	s_and_saveexec_b64 s[6:7], s[2:3]
	s_cbranch_execz .LBB11_6
; %bb.10:                               ;   in Loop: Header=BB11_7 Depth=1
	ds_read_b128 v[10:13], v34
	ds_read_b128 v[38:41], v34 offset:16
	ds_read_b128 v[42:45], v34 offset:32
	;; [unrolled: 1-line block ×3, first 2 shown]
	s_waitcnt lgkmcnt(3)
	v_lshl_add_u64 v[32:33], v[10:11], 4, v[24:25]
	v_lshl_add_u64 v[62:63], v[12:13], 4, v[24:25]
	s_waitcnt lgkmcnt(2)
	v_lshl_add_u64 v[64:65], v[38:39], 4, v[24:25]
	v_lshl_add_u64 v[66:67], v[40:41], 4, v[24:25]
	;; [unrolled: 3-line block ×3, first 2 shown]
	global_load_dwordx4 v[10:13], v[32:33], off
	global_load_dwordx4 v[38:41], v[62:63], off
	;; [unrolled: 1-line block ×6, first 2 shown]
	s_waitcnt lgkmcnt(0)
	v_lshl_add_u64 v[32:33], v[46:47], 4, v[24:25]
	v_lshl_add_u64 v[66:67], v[48:49], 4, v[24:25]
	global_load_dwordx4 v[46:49], v[32:33], off
	global_load_dwordx4 v[62:65], v[66:67], off
	ds_read_b128 v[66:69], v36
	ds_read_b128 v[70:73], v36 offset:16
	ds_read_b128 v[74:77], v36 offset:32
	;; [unrolled: 1-line block ×7, first 2 shown]
	s_waitcnt vmcnt(7)
	v_xor_b32_e32 v32, 0x80000000, v13
	s_waitcnt lgkmcnt(7)
	v_fmac_f64_e32 v[30:31], v[66:67], v[10:11]
	v_fmac_f64_e32 v[22:23], v[68:69], v[10:11]
	s_waitcnt vmcnt(6)
	v_xor_b32_e32 v10, 0x80000000, v41
	s_waitcnt vmcnt(5)
	v_xor_b32_e32 v11, 0x80000000, v45
	v_cndmask_b32_e64 v13, v13, v32, s[0:1]
	v_cndmask_b32_e64 v41, v41, v10, s[0:1]
	;; [unrolled: 1-line block ×3, first 2 shown]
	v_fma_f64 v[10:11], -v[68:69], v[12:13], v[30:31]
	v_fmac_f64_e32 v[22:23], v[66:67], v[12:13]
	s_waitcnt lgkmcnt(6)
	v_fmac_f64_e32 v[10:11], v[70:71], v[38:39]
	v_fmac_f64_e32 v[22:23], v[72:73], v[38:39]
	v_fma_f64 v[10:11], -v[72:73], v[40:41], v[10:11]
	v_fmac_f64_e32 v[22:23], v[70:71], v[40:41]
	s_waitcnt lgkmcnt(5)
	v_fmac_f64_e32 v[10:11], v[74:75], v[42:43]
	v_fmac_f64_e32 v[22:23], v[76:77], v[42:43]
	s_waitcnt vmcnt(4)
	v_xor_b32_e32 v33, 0x80000000, v53
	v_fma_f64 v[10:11], -v[76:77], v[44:45], v[10:11]
	v_fmac_f64_e32 v[22:23], v[74:75], v[44:45]
	v_cndmask_b32_e64 v53, v53, v33, s[0:1]
	s_waitcnt lgkmcnt(4)
	v_fmac_f64_e32 v[10:11], v[78:79], v[50:51]
	v_fmac_f64_e32 v[22:23], v[80:81], v[50:51]
	s_waitcnt vmcnt(3)
	v_xor_b32_e32 v98, 0x80000000, v57
	v_fma_f64 v[10:11], -v[80:81], v[52:53], v[10:11]
	v_fmac_f64_e32 v[22:23], v[78:79], v[52:53]
	v_cndmask_b32_e64 v57, v57, v98, s[0:1]
	;; [unrolled: 8-line block ×5, first 2 shown]
	s_waitcnt lgkmcnt(0)
	v_fmac_f64_e32 v[10:11], v[94:95], v[62:63]
	v_fmac_f64_e32 v[22:23], v[96:97], v[62:63]
	v_fma_f64 v[30:31], -v[96:97], v[64:65], v[10:11]
	v_fmac_f64_e32 v[22:23], v[94:95], v[64:65]
	s_branch .LBB11_6
.LBB11_11:
	s_or_b64 exec, exec, s[12:13]
.LBB11_12:
	s_or_b64 exec, exec, s[8:9]
	v_cmp_gt_i64_e32 vcc, s[10:11], v[16:17]
	s_and_b64 exec, exec, vcc
	s_cbranch_execz .LBB11_23
; %bb.13:
	v_cmp_neq_f64_e32 vcc, 0, v[2:3]
	v_cmp_neq_f64_e64 s[0:1], 0, v[4:5]
	s_or_b64 s[6:7], vcc, s[0:1]
	s_waitcnt lgkmcnt(0)
	s_cmp_lg_u32 s38, 1
	v_mul_f64 v[10:11], v[22:23], -v[8:9]
	v_mul_f64 v[12:13], v[6:7], v[22:23]
	s_cselect_b64 s[2:3], -1, 0
	s_mul_i32 s8, s37, s4
	s_mul_hi_u32 s9, s36, s4
	s_mul_i32 s0, s36, s4
	v_fmac_f64_e32 v[10:11], v[6:7], v[30:31]
	v_fmac_f64_e32 v[12:13], v[8:9], v[30:31]
	s_and_saveexec_b64 s[4:5], s[6:7]
	s_xor_b64 s[4:5], exec, s[4:5]
	s_cbranch_execz .LBB11_18
; %bb.14:
	s_add_i32 s1, s9, s8
	s_mov_b64 s[6:7], -1
	s_and_b64 vcc, exec, s[2:3]
	s_cbranch_vccz .LBB11_16
; %bb.15:
	v_mad_u64_u32 v[0:1], s[6:7], s30, v14, 0
	v_mov_b32_e32 v6, v1
	v_mad_u64_u32 v[6:7], s[6:7], s31, v14, v[6:7]
	v_mov_b32_e32 v1, v6
	v_lshl_add_u64 v[0:1], v[0:1], 4, s[28:29]
	v_lshl_add_u64 v[0:1], v[16:17], 4, v[0:1]
	v_lshl_add_u64 v[0:1], s[0:1], 4, v[0:1]
	global_load_dwordx4 v[6:9], v[0:1], off
	s_mov_b64 s[6:7], 0
	s_waitcnt vmcnt(0)
	v_fma_f64 v[18:19], v[2:3], v[6:7], v[10:11]
	v_fma_f64 v[20:21], v[4:5], v[6:7], v[12:13]
	v_fma_f64 v[18:19], -v[4:5], v[8:9], v[18:19]
	v_fmac_f64_e32 v[20:21], v[2:3], v[8:9]
	global_store_dwordx4 v[0:1], v[18:21], off
.LBB11_16:
	s_andn2_b64 vcc, exec, s[6:7]
	s_cbranch_vccnz .LBB11_18
; %bb.17:
	v_mad_u64_u32 v[0:1], s[6:7], s30, v16, 0
	v_mov_b32_e32 v6, v1
	v_mad_u64_u32 v[6:7], s[6:7], s31, v16, v[6:7]
	v_mov_b32_e32 v1, v6
	v_lshl_add_u64 v[0:1], v[0:1], 4, s[28:29]
	v_lshl_add_u64 v[0:1], v[14:15], 4, v[0:1]
	;; [unrolled: 1-line block ×3, first 2 shown]
	global_load_dwordx4 v[6:9], v[0:1], off
                                        ; implicit-def: $vgpr16_vgpr17
                                        ; implicit-def: $vgpr14_vgpr15
	s_waitcnt vmcnt(0)
	v_fmac_f64_e32 v[10:11], v[2:3], v[6:7]
	v_fmac_f64_e32 v[12:13], v[4:5], v[6:7]
	v_fma_f64 v[10:11], -v[4:5], v[8:9], v[10:11]
	v_fmac_f64_e32 v[12:13], v[2:3], v[8:9]
	global_store_dwordx4 v[0:1], v[10:13], off
                                        ; implicit-def: $vgpr10_vgpr11
.LBB11_18:
	s_andn2_saveexec_b64 s[4:5], s[4:5]
	s_cbranch_execz .LBB11_23
; %bb.19:
	s_add_i32 s1, s9, s8
	s_mov_b64 s[4:5], -1
	s_and_b64 vcc, exec, s[2:3]
	s_cbranch_vccz .LBB11_21
; %bb.20:
	v_mad_u64_u32 v[0:1], s[2:3], s30, v14, 0
	v_mov_b32_e32 v2, v1
	v_mad_u64_u32 v[2:3], s[2:3], s31, v14, v[2:3]
	v_mov_b32_e32 v1, v2
	v_lshl_add_u64 v[0:1], v[0:1], 4, s[28:29]
	v_lshl_add_u64 v[0:1], v[16:17], 4, v[0:1]
	;; [unrolled: 1-line block ×3, first 2 shown]
	global_store_dwordx4 v[0:1], v[10:13], off
	s_mov_b64 s[4:5], 0
.LBB11_21:
	s_andn2_b64 vcc, exec, s[4:5]
	s_cbranch_vccnz .LBB11_23
; %bb.22:
	v_mad_u64_u32 v[0:1], s[2:3], s30, v16, 0
	v_mov_b32_e32 v2, v1
	v_mad_u64_u32 v[2:3], s[2:3], s31, v16, v[2:3]
	v_mov_b32_e32 v1, v2
	v_lshl_add_u64 v[0:1], v[0:1], 4, s[28:29]
	v_lshl_add_u64 v[0:1], v[14:15], 4, v[0:1]
	;; [unrolled: 1-line block ×3, first 2 shown]
	global_store_dwordx4 v[0:1], v[10:13], off
.LBB11_23:
	s_endpgm
	.section	.rodata,"a",@progbits
	.p2align	6, 0x0
	.amdhsa_kernel _ZN9rocsparse31csrmmnn_row_split_shared_kernelILj256ELj8E21rocsparse_complex_numIdEllS2_S2_S2_EEvNS_24const_host_device_scalarIT1_EES5_bbbT3_S6_llPKT2_PKS6_PKT4_PKT5_llPT6_ll16rocsparse_order_21rocsparse_index_base_
		.amdhsa_group_segment_fixed_size 6144
		.amdhsa_private_segment_fixed_size 0
		.amdhsa_kernarg_size 152
		.amdhsa_user_sgpr_count 2
		.amdhsa_user_sgpr_dispatch_ptr 0
		.amdhsa_user_sgpr_queue_ptr 0
		.amdhsa_user_sgpr_kernarg_segment_ptr 1
		.amdhsa_user_sgpr_dispatch_id 0
		.amdhsa_user_sgpr_kernarg_preload_length 0
		.amdhsa_user_sgpr_kernarg_preload_offset 0
		.amdhsa_user_sgpr_private_segment_size 0
		.amdhsa_uses_dynamic_stack 0
		.amdhsa_enable_private_segment 0
		.amdhsa_system_sgpr_workgroup_id_x 1
		.amdhsa_system_sgpr_workgroup_id_y 1
		.amdhsa_system_sgpr_workgroup_id_z 1
		.amdhsa_system_sgpr_workgroup_info 0
		.amdhsa_system_vgpr_workitem_id 0
		.amdhsa_next_free_vgpr 102
		.amdhsa_next_free_sgpr 40
		.amdhsa_accum_offset 104
		.amdhsa_reserve_vcc 1
		.amdhsa_float_round_mode_32 0
		.amdhsa_float_round_mode_16_64 0
		.amdhsa_float_denorm_mode_32 3
		.amdhsa_float_denorm_mode_16_64 3
		.amdhsa_dx10_clamp 1
		.amdhsa_ieee_mode 1
		.amdhsa_fp16_overflow 0
		.amdhsa_tg_split 0
		.amdhsa_exception_fp_ieee_invalid_op 0
		.amdhsa_exception_fp_denorm_src 0
		.amdhsa_exception_fp_ieee_div_zero 0
		.amdhsa_exception_fp_ieee_overflow 0
		.amdhsa_exception_fp_ieee_underflow 0
		.amdhsa_exception_fp_ieee_inexact 0
		.amdhsa_exception_int_div_zero 0
	.end_amdhsa_kernel
	.section	.text._ZN9rocsparse31csrmmnn_row_split_shared_kernelILj256ELj8E21rocsparse_complex_numIdEllS2_S2_S2_EEvNS_24const_host_device_scalarIT1_EES5_bbbT3_S6_llPKT2_PKS6_PKT4_PKT5_llPT6_ll16rocsparse_order_21rocsparse_index_base_,"axG",@progbits,_ZN9rocsparse31csrmmnn_row_split_shared_kernelILj256ELj8E21rocsparse_complex_numIdEllS2_S2_S2_EEvNS_24const_host_device_scalarIT1_EES5_bbbT3_S6_llPKT2_PKS6_PKT4_PKT5_llPT6_ll16rocsparse_order_21rocsparse_index_base_,comdat
.Lfunc_end11:
	.size	_ZN9rocsparse31csrmmnn_row_split_shared_kernelILj256ELj8E21rocsparse_complex_numIdEllS2_S2_S2_EEvNS_24const_host_device_scalarIT1_EES5_bbbT3_S6_llPKT2_PKS6_PKT4_PKT5_llPT6_ll16rocsparse_order_21rocsparse_index_base_, .Lfunc_end11-_ZN9rocsparse31csrmmnn_row_split_shared_kernelILj256ELj8E21rocsparse_complex_numIdEllS2_S2_S2_EEvNS_24const_host_device_scalarIT1_EES5_bbbT3_S6_llPKT2_PKS6_PKT4_PKT5_llPT6_ll16rocsparse_order_21rocsparse_index_base_
                                        ; -- End function
	.set _ZN9rocsparse31csrmmnn_row_split_shared_kernelILj256ELj8E21rocsparse_complex_numIdEllS2_S2_S2_EEvNS_24const_host_device_scalarIT1_EES5_bbbT3_S6_llPKT2_PKS6_PKT4_PKT5_llPT6_ll16rocsparse_order_21rocsparse_index_base_.num_vgpr, 102
	.set _ZN9rocsparse31csrmmnn_row_split_shared_kernelILj256ELj8E21rocsparse_complex_numIdEllS2_S2_S2_EEvNS_24const_host_device_scalarIT1_EES5_bbbT3_S6_llPKT2_PKS6_PKT4_PKT5_llPT6_ll16rocsparse_order_21rocsparse_index_base_.num_agpr, 0
	.set _ZN9rocsparse31csrmmnn_row_split_shared_kernelILj256ELj8E21rocsparse_complex_numIdEllS2_S2_S2_EEvNS_24const_host_device_scalarIT1_EES5_bbbT3_S6_llPKT2_PKS6_PKT4_PKT5_llPT6_ll16rocsparse_order_21rocsparse_index_base_.numbered_sgpr, 40
	.set _ZN9rocsparse31csrmmnn_row_split_shared_kernelILj256ELj8E21rocsparse_complex_numIdEllS2_S2_S2_EEvNS_24const_host_device_scalarIT1_EES5_bbbT3_S6_llPKT2_PKS6_PKT4_PKT5_llPT6_ll16rocsparse_order_21rocsparse_index_base_.num_named_barrier, 0
	.set _ZN9rocsparse31csrmmnn_row_split_shared_kernelILj256ELj8E21rocsparse_complex_numIdEllS2_S2_S2_EEvNS_24const_host_device_scalarIT1_EES5_bbbT3_S6_llPKT2_PKS6_PKT4_PKT5_llPT6_ll16rocsparse_order_21rocsparse_index_base_.private_seg_size, 0
	.set _ZN9rocsparse31csrmmnn_row_split_shared_kernelILj256ELj8E21rocsparse_complex_numIdEllS2_S2_S2_EEvNS_24const_host_device_scalarIT1_EES5_bbbT3_S6_llPKT2_PKS6_PKT4_PKT5_llPT6_ll16rocsparse_order_21rocsparse_index_base_.uses_vcc, 1
	.set _ZN9rocsparse31csrmmnn_row_split_shared_kernelILj256ELj8E21rocsparse_complex_numIdEllS2_S2_S2_EEvNS_24const_host_device_scalarIT1_EES5_bbbT3_S6_llPKT2_PKS6_PKT4_PKT5_llPT6_ll16rocsparse_order_21rocsparse_index_base_.uses_flat_scratch, 0
	.set _ZN9rocsparse31csrmmnn_row_split_shared_kernelILj256ELj8E21rocsparse_complex_numIdEllS2_S2_S2_EEvNS_24const_host_device_scalarIT1_EES5_bbbT3_S6_llPKT2_PKS6_PKT4_PKT5_llPT6_ll16rocsparse_order_21rocsparse_index_base_.has_dyn_sized_stack, 0
	.set _ZN9rocsparse31csrmmnn_row_split_shared_kernelILj256ELj8E21rocsparse_complex_numIdEllS2_S2_S2_EEvNS_24const_host_device_scalarIT1_EES5_bbbT3_S6_llPKT2_PKS6_PKT4_PKT5_llPT6_ll16rocsparse_order_21rocsparse_index_base_.has_recursion, 0
	.set _ZN9rocsparse31csrmmnn_row_split_shared_kernelILj256ELj8E21rocsparse_complex_numIdEllS2_S2_S2_EEvNS_24const_host_device_scalarIT1_EES5_bbbT3_S6_llPKT2_PKS6_PKT4_PKT5_llPT6_ll16rocsparse_order_21rocsparse_index_base_.has_indirect_call, 0
	.section	.AMDGPU.csdata,"",@progbits
; Kernel info:
; codeLenInByte = 1792
; TotalNumSgprs: 46
; NumVgprs: 102
; NumAgprs: 0
; TotalNumVgprs: 102
; ScratchSize: 0
; MemoryBound: 1
; FloatMode: 240
; IeeeMode: 1
; LDSByteSize: 6144 bytes/workgroup (compile time only)
; SGPRBlocks: 5
; VGPRBlocks: 12
; NumSGPRsForWavesPerEU: 46
; NumVGPRsForWavesPerEU: 102
; AccumOffset: 104
; Occupancy: 4
; WaveLimiterHint : 0
; COMPUTE_PGM_RSRC2:SCRATCH_EN: 0
; COMPUTE_PGM_RSRC2:USER_SGPR: 2
; COMPUTE_PGM_RSRC2:TRAP_HANDLER: 0
; COMPUTE_PGM_RSRC2:TGID_X_EN: 1
; COMPUTE_PGM_RSRC2:TGID_Y_EN: 1
; COMPUTE_PGM_RSRC2:TGID_Z_EN: 1
; COMPUTE_PGM_RSRC2:TIDIG_COMP_CNT: 0
; COMPUTE_PGM_RSRC3_GFX90A:ACCUM_OFFSET: 25
; COMPUTE_PGM_RSRC3_GFX90A:TG_SPLIT: 0
	.section	.text._ZN9rocsparse31csrmmnn_row_split_shared_kernelILj256ELj8EfiiDF16_DF16_fEEvNS_24const_host_device_scalarIT1_EES3_bbbT3_S4_llPKT2_PKS4_PKT4_PKT5_llPT6_ll16rocsparse_order_21rocsparse_index_base_,"axG",@progbits,_ZN9rocsparse31csrmmnn_row_split_shared_kernelILj256ELj8EfiiDF16_DF16_fEEvNS_24const_host_device_scalarIT1_EES3_bbbT3_S4_llPKT2_PKS4_PKT4_PKT5_llPT6_ll16rocsparse_order_21rocsparse_index_base_,comdat
	.protected	_ZN9rocsparse31csrmmnn_row_split_shared_kernelILj256ELj8EfiiDF16_DF16_fEEvNS_24const_host_device_scalarIT1_EES3_bbbT3_S4_llPKT2_PKS4_PKT4_PKT5_llPT6_ll16rocsparse_order_21rocsparse_index_base_ ; -- Begin function _ZN9rocsparse31csrmmnn_row_split_shared_kernelILj256ELj8EfiiDF16_DF16_fEEvNS_24const_host_device_scalarIT1_EES3_bbbT3_S4_llPKT2_PKS4_PKT4_PKT5_llPT6_ll16rocsparse_order_21rocsparse_index_base_
	.globl	_ZN9rocsparse31csrmmnn_row_split_shared_kernelILj256ELj8EfiiDF16_DF16_fEEvNS_24const_host_device_scalarIT1_EES3_bbbT3_S4_llPKT2_PKS4_PKT4_PKT5_llPT6_ll16rocsparse_order_21rocsparse_index_base_
	.p2align	8
	.type	_ZN9rocsparse31csrmmnn_row_split_shared_kernelILj256ELj8EfiiDF16_DF16_fEEvNS_24const_host_device_scalarIT1_EES3_bbbT3_S4_llPKT2_PKS4_PKT4_PKT5_llPT6_ll16rocsparse_order_21rocsparse_index_base_,@function
_ZN9rocsparse31csrmmnn_row_split_shared_kernelILj256ELj8EfiiDF16_DF16_fEEvNS_24const_host_device_scalarIT1_EES3_bbbT3_S4_llPKT2_PKS4_PKT4_PKT5_llPT6_ll16rocsparse_order_21rocsparse_index_base_: ; @_ZN9rocsparse31csrmmnn_row_split_shared_kernelILj256ELj8EfiiDF16_DF16_fEEvNS_24const_host_device_scalarIT1_EES3_bbbT3_S4_llPKT2_PKS4_PKT4_PKT5_llPT6_ll16rocsparse_order_21rocsparse_index_base_
; %bb.0:
	s_load_dwordx8 s[24:31], s[0:1], 0x0
	s_waitcnt lgkmcnt(0)
	s_bitcmp1_b32 s28, 0
	s_cselect_b64 s[8:9], -1, 0
	s_xor_b64 s[6:7], s[8:9], -1
	s_and_b64 vcc, exec, s[8:9]
	s_cbranch_vccnz .LBB12_2
; %bb.1:
	s_load_dword s24, s[24:25], 0x0
.LBB12_2:
	s_andn2_b64 vcc, exec, s[6:7]
	s_cbranch_vccnz .LBB12_4
; %bb.3:
	s_load_dword s26, s[26:27], 0x0
.LBB12_4:
	s_waitcnt lgkmcnt(0)
	v_cmp_eq_f32_e64 s[6:7], s24, 0
	v_cmp_eq_f32_e64 s[8:9], s26, 1.0
	s_and_b64 s[6:7], s[6:7], s[8:9]
	s_and_b64 vcc, exec, s[6:7]
	s_cbranch_vccnz .LBB12_21
; %bb.5:
	v_lshl_or_b32 v1, s2, 8, v0
	v_lshrrev_b32_e32 v8, 3, v1
	v_cmp_gt_i32_e32 vcc, s29, v8
	s_and_saveexec_b64 s[6:7], vcc
	s_cbranch_execz .LBB12_21
; %bb.6:
	s_load_dwordx16 s[8:23], s[0:1], 0x20
	s_ashr_i32 s5, s4, 31
	v_lshlrev_b32_e32 v2, 2, v8
	v_and_b32_e32 v3, 7, v0
	v_lshl_or_b32 v4, s3, 3, v3
	s_waitcnt lgkmcnt(0)
	s_mul_hi_u32 s2, s8, s4
	s_mul_i32 s7, s8, s5
	s_mul_i32 s9, s9, s4
	s_add_i32 s2, s2, s7
	s_mul_i32 s6, s8, s4
	s_add_i32 s7, s2, s9
	s_lshl_b64 s[6:7], s[6:7], 2
	s_add_u32 s6, s12, s6
	s_addc_u32 s7, s13, s7
	global_load_dwordx2 v[6:7], v2, s[6:7]
	s_load_dwordx2 s[6:7], s[0:1], 0x78
	v_ashrrev_i32_e32 v5, 31, v4
	v_mov_b32_e32 v11, 0
	s_waitcnt vmcnt(0)
	v_cmp_lt_i32_e32 vcc, v6, v7
	s_and_saveexec_b64 s[8:9], vcc
	s_cbranch_execz .LBB12_14
; %bb.7:
	s_waitcnt lgkmcnt(0)
	v_subrev_u32_e32 v9, s7, v7
	v_subrev_u32_e32 v10, s7, v6
	v_mad_u64_u32 v[6:7], s[2:3], s20, v4, 0
	s_mul_i32 s2, s10, s5
	s_mul_hi_u32 s3, s10, s4
	v_lshlrev_b32_e32 v0, 2, v0
	s_add_i32 s2, s3, s2
	s_mul_i32 s3, s11, s4
	v_mul_lo_u32 v1, s21, v4
	v_mul_lo_u32 v11, s20, v5
	v_and_b32_e32 v12, 0x3e0, v0
	s_add_i32 s11, s2, s3
	s_mul_i32 s2, s22, s5
	s_mul_hi_u32 s3, s22, s4
	v_mov_b32_e32 v16, s18
	v_mov_b32_e32 v17, s19
	v_add3_u32 v7, v7, v11, v1
	v_lshlrev_b32_e32 v0, 2, v3
	v_or_b32_e32 v14, 0x400, v12
	s_add_i32 s2, s3, s2
	s_mul_i32 s3, s23, s4
	v_or_b32_e32 v13, v12, v0
	v_or_b32_e32 v15, v14, v0
	s_add_i32 s3, s2, s3
	s_mul_i32 s2, s22, s4
	v_lshl_add_u64 v[0:1], v[6:7], 1, v[16:17]
	s_mul_i32 s10, s10, s4
	v_cmp_gt_i32_e32 vcc, s30, v4
	v_lshl_add_u64 v[0:1], s[2:3], 1, v[0:1]
	v_mov_b32_e32 v11, 0
	s_mov_b64 s[12:13], 0
	s_branch .LBB12_9
.LBB12_8:                               ;   in Loop: Header=BB12_9 Depth=1
	s_or_b64 exec, exec, s[2:3]
	v_add_u32_e32 v10, 8, v10
	v_cmp_ge_i32_e64 s[2:3], v10, v9
	s_or_b64 s[12:13], s[2:3], s[12:13]
	s_andn2_b64 exec, exec, s[12:13]
	s_cbranch_execz .LBB12_13
.LBB12_9:                               ; =>This Inner Loop Header: Depth=1
	v_add_u32_e32 v6, v3, v10
	v_cmp_lt_i32_e64 s[2:3], v6, v9
	v_mov_b32_e32 v16, 0
	v_mov_b32_e32 v7, 0
	s_barrier
	s_and_saveexec_b64 s[18:19], s[2:3]
	s_cbranch_execz .LBB12_11
; %bb.10:                               ;   in Loop: Header=BB12_9 Depth=1
	v_ashrrev_i32_e32 v7, 31, v6
	v_lshl_add_u64 v[6:7], s[10:11], 0, v[6:7]
	v_lshl_add_u64 v[16:17], v[6:7], 1, s[16:17]
	global_load_ushort v16, v[16:17], off
	v_lshl_add_u64 v[6:7], v[6:7], 2, s[14:15]
	global_load_dword v6, v[6:7], off
	s_waitcnt vmcnt(1)
	v_cvt_f32_f16_e32 v7, v16
	s_waitcnt vmcnt(0)
	v_subrev_u32_e32 v16, s7, v6
.LBB12_11:                              ;   in Loop: Header=BB12_9 Depth=1
	s_or_b64 exec, exec, s[18:19]
	ds_write_b32 v13, v16
	ds_write_b32 v15, v7
	s_waitcnt lgkmcnt(0)
	s_barrier
	s_and_saveexec_b64 s[2:3], vcc
	s_cbranch_execz .LBB12_8
; %bb.12:                               ;   in Loop: Header=BB12_9 Depth=1
	ds_read_b128 v[16:19], v12
	ds_read_b128 v[20:23], v12 offset:16
	s_waitcnt lgkmcnt(1)
	v_ashrrev_i32_e32 v7, 31, v16
	v_mov_b32_e32 v6, v16
	v_ashrrev_i32_e32 v25, 31, v17
	v_mov_b32_e32 v24, v17
	;; [unrolled: 2-line block ×3, first 2 shown]
	s_waitcnt lgkmcnt(0)
	v_ashrrev_i32_e32 v29, 31, v21
	v_mov_b32_e32 v28, v21
	v_lshl_add_u64 v[6:7], v[6:7], 1, v[0:1]
	v_lshl_add_u64 v[16:17], v[24:25], 1, v[0:1]
	v_ashrrev_i32_e32 v25, 31, v18
	v_mov_b32_e32 v24, v18
	v_lshl_add_u64 v[18:19], v[26:27], 1, v[0:1]
	v_ashrrev_i32_e32 v27, 31, v20
	v_mov_b32_e32 v26, v20
	;; [unrolled: 3-line block ×3, first 2 shown]
	v_ashrrev_i32_e32 v31, 31, v23
	v_mov_b32_e32 v30, v23
	v_lshl_add_u64 v[24:25], v[24:25], 1, v[0:1]
	v_lshl_add_u64 v[26:27], v[26:27], 1, v[0:1]
	;; [unrolled: 1-line block ×4, first 2 shown]
	global_load_ushort v30, v[6:7], off
	global_load_ushort v31, v[16:17], off
	;; [unrolled: 1-line block ×8, first 2 shown]
	ds_read_b128 v[16:19], v14
	ds_read_b128 v[20:23], v14 offset:16
	s_waitcnt vmcnt(7) lgkmcnt(1)
	v_fma_mix_f32 v6, v16, v30, v11 op_sel_hi:[0,1,0]
	s_waitcnt vmcnt(6)
	v_fma_mix_f32 v6, v17, v31, v6 op_sel_hi:[0,1,0]
	s_waitcnt vmcnt(5)
	;; [unrolled: 2-line block ×3, first 2 shown]
	v_fma_mix_f32 v6, v19, v33, v6 op_sel_hi:[0,1,0]
	s_waitcnt vmcnt(3) lgkmcnt(0)
	v_fma_mix_f32 v6, v20, v34, v6 op_sel_hi:[0,1,0]
	s_waitcnt vmcnt(2)
	v_fma_mix_f32 v6, v21, v35, v6 op_sel_hi:[0,1,0]
	s_waitcnt vmcnt(1)
	;; [unrolled: 2-line block ×3, first 2 shown]
	v_fma_mix_f32 v11, v23, v37, v6 op_sel_hi:[0,1,0]
	s_branch .LBB12_8
.LBB12_13:
	s_or_b64 exec, exec, s[12:13]
.LBB12_14:
	s_or_b64 exec, exec, s[8:9]
	v_cmp_gt_i32_e32 vcc, s30, v4
	s_and_b64 exec, exec, vcc
	s_cbranch_execz .LBB12_21
; %bb.15:
	s_load_dwordx4 s[8:11], s[0:1], 0x60
	s_load_dwordx2 s[14:15], s[0:1], 0x70
	v_cmp_neq_f32_e64 s[0:1], s26, 0
	s_waitcnt lgkmcnt(0)
	s_cmp_lg_u32 s6, 1
	s_cselect_b64 s[2:3], -1, 0
	s_and_b64 vcc, exec, s[0:1]
	v_mul_f32_e32 v0, s24, v11
	s_mul_i32 s6, s14, s5
	s_mul_hi_u32 s7, s14, s4
	s_mul_i32 s12, s15, s4
	s_mul_i32 s0, s14, s4
	s_cbranch_vccz .LBB12_22
; %bb.16:
	s_add_i32 s1, s7, s6
	s_add_i32 s1, s1, s12
	s_mov_b64 s[4:5], -1
	s_and_b64 vcc, exec, s[2:3]
	s_cbranch_vccz .LBB12_18
; %bb.17:
	v_mad_u64_u32 v[6:7], s[4:5], s10, v8, 0
	v_mov_b32_e32 v10, v7
	v_mad_u64_u32 v[10:11], s[4:5], s11, v8, v[10:11]
	v_mov_b32_e32 v7, v10
	v_lshl_add_u64 v[6:7], v[6:7], 2, s[8:9]
	v_lshl_add_u64 v[6:7], v[4:5], 2, v[6:7]
	;; [unrolled: 1-line block ×3, first 2 shown]
	global_load_dword v1, v[6:7], off
	s_mov_b64 s[4:5], 0
	s_waitcnt vmcnt(0)
	v_fma_f32 v1, s26, v1, v0
	global_store_dword v[6:7], v1, off
.LBB12_18:
	s_andn2_b64 vcc, exec, s[4:5]
	s_cbranch_vccnz .LBB12_20
; %bb.19:
	v_mul_lo_u32 v1, s11, v4
	v_mul_lo_u32 v3, s10, v5
	v_mad_u64_u32 v[6:7], s[4:5], s10, v4, 0
	v_add3_u32 v7, v7, v3, v1
	v_lshl_add_u64 v[6:7], v[6:7], 2, s[8:9]
	v_mov_b32_e32 v3, 0
	v_lshl_add_u64 v[6:7], v[6:7], 0, v[2:3]
	v_lshl_add_u64 v[6:7], s[0:1], 2, v[6:7]
	global_load_dword v1, v[6:7], off
	s_waitcnt vmcnt(0)
	v_fma_f32 v1, s26, v1, v0
	global_store_dword v[6:7], v1, off
.LBB12_20:
	s_cbranch_execz .LBB12_23
.LBB12_21:
	s_endpgm
.LBB12_22:
.LBB12_23:
	s_add_i32 s1, s7, s6
	s_add_i32 s1, s1, s12
	s_mov_b64 s[4:5], -1
	s_and_b64 vcc, exec, s[2:3]
	s_cbranch_vccz .LBB12_25
; %bb.24:
	v_mad_u64_u32 v[6:7], s[2:3], s10, v8, 0
	v_mov_b32_e32 v10, v7
	v_mad_u64_u32 v[8:9], s[2:3], s11, v8, v[10:11]
	v_mov_b32_e32 v7, v8
	v_lshl_add_u64 v[6:7], v[6:7], 2, s[8:9]
	v_lshl_add_u64 v[6:7], v[4:5], 2, v[6:7]
	;; [unrolled: 1-line block ×3, first 2 shown]
	global_store_dword v[6:7], v0, off
	s_mov_b64 s[4:5], 0
.LBB12_25:
	s_andn2_b64 vcc, exec, s[4:5]
	s_cbranch_vccnz .LBB12_21
; %bb.26:
	v_mul_lo_u32 v1, s11, v4
	v_mul_lo_u32 v3, s10, v5
	v_mad_u64_u32 v[4:5], s[2:3], s10, v4, 0
	v_add3_u32 v5, v5, v3, v1
	v_lshl_add_u64 v[4:5], v[4:5], 2, s[8:9]
	v_mov_b32_e32 v3, 0
	v_lshl_add_u64 v[2:3], v[4:5], 0, v[2:3]
	v_lshl_add_u64 v[2:3], s[0:1], 2, v[2:3]
	global_store_dword v[2:3], v0, off
	s_endpgm
	.section	.rodata,"a",@progbits
	.p2align	6, 0x0
	.amdhsa_kernel _ZN9rocsparse31csrmmnn_row_split_shared_kernelILj256ELj8EfiiDF16_DF16_fEEvNS_24const_host_device_scalarIT1_EES3_bbbT3_S4_llPKT2_PKS4_PKT4_PKT5_llPT6_ll16rocsparse_order_21rocsparse_index_base_
		.amdhsa_group_segment_fixed_size 2048
		.amdhsa_private_segment_fixed_size 0
		.amdhsa_kernarg_size 128
		.amdhsa_user_sgpr_count 2
		.amdhsa_user_sgpr_dispatch_ptr 0
		.amdhsa_user_sgpr_queue_ptr 0
		.amdhsa_user_sgpr_kernarg_segment_ptr 1
		.amdhsa_user_sgpr_dispatch_id 0
		.amdhsa_user_sgpr_kernarg_preload_length 0
		.amdhsa_user_sgpr_kernarg_preload_offset 0
		.amdhsa_user_sgpr_private_segment_size 0
		.amdhsa_uses_dynamic_stack 0
		.amdhsa_enable_private_segment 0
		.amdhsa_system_sgpr_workgroup_id_x 1
		.amdhsa_system_sgpr_workgroup_id_y 1
		.amdhsa_system_sgpr_workgroup_id_z 1
		.amdhsa_system_sgpr_workgroup_info 0
		.amdhsa_system_vgpr_workitem_id 0
		.amdhsa_next_free_vgpr 38
		.amdhsa_next_free_sgpr 32
		.amdhsa_accum_offset 40
		.amdhsa_reserve_vcc 1
		.amdhsa_float_round_mode_32 0
		.amdhsa_float_round_mode_16_64 0
		.amdhsa_float_denorm_mode_32 3
		.amdhsa_float_denorm_mode_16_64 3
		.amdhsa_dx10_clamp 1
		.amdhsa_ieee_mode 1
		.amdhsa_fp16_overflow 0
		.amdhsa_tg_split 0
		.amdhsa_exception_fp_ieee_invalid_op 0
		.amdhsa_exception_fp_denorm_src 0
		.amdhsa_exception_fp_ieee_div_zero 0
		.amdhsa_exception_fp_ieee_overflow 0
		.amdhsa_exception_fp_ieee_underflow 0
		.amdhsa_exception_fp_ieee_inexact 0
		.amdhsa_exception_int_div_zero 0
	.end_amdhsa_kernel
	.section	.text._ZN9rocsparse31csrmmnn_row_split_shared_kernelILj256ELj8EfiiDF16_DF16_fEEvNS_24const_host_device_scalarIT1_EES3_bbbT3_S4_llPKT2_PKS4_PKT4_PKT5_llPT6_ll16rocsparse_order_21rocsparse_index_base_,"axG",@progbits,_ZN9rocsparse31csrmmnn_row_split_shared_kernelILj256ELj8EfiiDF16_DF16_fEEvNS_24const_host_device_scalarIT1_EES3_bbbT3_S4_llPKT2_PKS4_PKT4_PKT5_llPT6_ll16rocsparse_order_21rocsparse_index_base_,comdat
.Lfunc_end12:
	.size	_ZN9rocsparse31csrmmnn_row_split_shared_kernelILj256ELj8EfiiDF16_DF16_fEEvNS_24const_host_device_scalarIT1_EES3_bbbT3_S4_llPKT2_PKS4_PKT4_PKT5_llPT6_ll16rocsparse_order_21rocsparse_index_base_, .Lfunc_end12-_ZN9rocsparse31csrmmnn_row_split_shared_kernelILj256ELj8EfiiDF16_DF16_fEEvNS_24const_host_device_scalarIT1_EES3_bbbT3_S4_llPKT2_PKS4_PKT4_PKT5_llPT6_ll16rocsparse_order_21rocsparse_index_base_
                                        ; -- End function
	.set _ZN9rocsparse31csrmmnn_row_split_shared_kernelILj256ELj8EfiiDF16_DF16_fEEvNS_24const_host_device_scalarIT1_EES3_bbbT3_S4_llPKT2_PKS4_PKT4_PKT5_llPT6_ll16rocsparse_order_21rocsparse_index_base_.num_vgpr, 38
	.set _ZN9rocsparse31csrmmnn_row_split_shared_kernelILj256ELj8EfiiDF16_DF16_fEEvNS_24const_host_device_scalarIT1_EES3_bbbT3_S4_llPKT2_PKS4_PKT4_PKT5_llPT6_ll16rocsparse_order_21rocsparse_index_base_.num_agpr, 0
	.set _ZN9rocsparse31csrmmnn_row_split_shared_kernelILj256ELj8EfiiDF16_DF16_fEEvNS_24const_host_device_scalarIT1_EES3_bbbT3_S4_llPKT2_PKS4_PKT4_PKT5_llPT6_ll16rocsparse_order_21rocsparse_index_base_.numbered_sgpr, 32
	.set _ZN9rocsparse31csrmmnn_row_split_shared_kernelILj256ELj8EfiiDF16_DF16_fEEvNS_24const_host_device_scalarIT1_EES3_bbbT3_S4_llPKT2_PKS4_PKT4_PKT5_llPT6_ll16rocsparse_order_21rocsparse_index_base_.num_named_barrier, 0
	.set _ZN9rocsparse31csrmmnn_row_split_shared_kernelILj256ELj8EfiiDF16_DF16_fEEvNS_24const_host_device_scalarIT1_EES3_bbbT3_S4_llPKT2_PKS4_PKT4_PKT5_llPT6_ll16rocsparse_order_21rocsparse_index_base_.private_seg_size, 0
	.set _ZN9rocsparse31csrmmnn_row_split_shared_kernelILj256ELj8EfiiDF16_DF16_fEEvNS_24const_host_device_scalarIT1_EES3_bbbT3_S4_llPKT2_PKS4_PKT4_PKT5_llPT6_ll16rocsparse_order_21rocsparse_index_base_.uses_vcc, 1
	.set _ZN9rocsparse31csrmmnn_row_split_shared_kernelILj256ELj8EfiiDF16_DF16_fEEvNS_24const_host_device_scalarIT1_EES3_bbbT3_S4_llPKT2_PKS4_PKT4_PKT5_llPT6_ll16rocsparse_order_21rocsparse_index_base_.uses_flat_scratch, 0
	.set _ZN9rocsparse31csrmmnn_row_split_shared_kernelILj256ELj8EfiiDF16_DF16_fEEvNS_24const_host_device_scalarIT1_EES3_bbbT3_S4_llPKT2_PKS4_PKT4_PKT5_llPT6_ll16rocsparse_order_21rocsparse_index_base_.has_dyn_sized_stack, 0
	.set _ZN9rocsparse31csrmmnn_row_split_shared_kernelILj256ELj8EfiiDF16_DF16_fEEvNS_24const_host_device_scalarIT1_EES3_bbbT3_S4_llPKT2_PKS4_PKT4_PKT5_llPT6_ll16rocsparse_order_21rocsparse_index_base_.has_recursion, 0
	.set _ZN9rocsparse31csrmmnn_row_split_shared_kernelILj256ELj8EfiiDF16_DF16_fEEvNS_24const_host_device_scalarIT1_EES3_bbbT3_S4_llPKT2_PKS4_PKT4_PKT5_llPT6_ll16rocsparse_order_21rocsparse_index_base_.has_indirect_call, 0
	.section	.AMDGPU.csdata,"",@progbits
; Kernel info:
; codeLenInByte = 1320
; TotalNumSgprs: 38
; NumVgprs: 38
; NumAgprs: 0
; TotalNumVgprs: 38
; ScratchSize: 0
; MemoryBound: 0
; FloatMode: 240
; IeeeMode: 1
; LDSByteSize: 2048 bytes/workgroup (compile time only)
; SGPRBlocks: 4
; VGPRBlocks: 4
; NumSGPRsForWavesPerEU: 38
; NumVGPRsForWavesPerEU: 38
; AccumOffset: 40
; Occupancy: 8
; WaveLimiterHint : 1
; COMPUTE_PGM_RSRC2:SCRATCH_EN: 0
; COMPUTE_PGM_RSRC2:USER_SGPR: 2
; COMPUTE_PGM_RSRC2:TRAP_HANDLER: 0
; COMPUTE_PGM_RSRC2:TGID_X_EN: 1
; COMPUTE_PGM_RSRC2:TGID_Y_EN: 1
; COMPUTE_PGM_RSRC2:TGID_Z_EN: 1
; COMPUTE_PGM_RSRC2:TIDIG_COMP_CNT: 0
; COMPUTE_PGM_RSRC3_GFX90A:ACCUM_OFFSET: 9
; COMPUTE_PGM_RSRC3_GFX90A:TG_SPLIT: 0
	.section	.text._ZN9rocsparse31csrmmnn_row_split_shared_kernelILj256ELj8EfliDF16_DF16_fEEvNS_24const_host_device_scalarIT1_EES3_bbbT3_S4_llPKT2_PKS4_PKT4_PKT5_llPT6_ll16rocsparse_order_21rocsparse_index_base_,"axG",@progbits,_ZN9rocsparse31csrmmnn_row_split_shared_kernelILj256ELj8EfliDF16_DF16_fEEvNS_24const_host_device_scalarIT1_EES3_bbbT3_S4_llPKT2_PKS4_PKT4_PKT5_llPT6_ll16rocsparse_order_21rocsparse_index_base_,comdat
	.protected	_ZN9rocsparse31csrmmnn_row_split_shared_kernelILj256ELj8EfliDF16_DF16_fEEvNS_24const_host_device_scalarIT1_EES3_bbbT3_S4_llPKT2_PKS4_PKT4_PKT5_llPT6_ll16rocsparse_order_21rocsparse_index_base_ ; -- Begin function _ZN9rocsparse31csrmmnn_row_split_shared_kernelILj256ELj8EfliDF16_DF16_fEEvNS_24const_host_device_scalarIT1_EES3_bbbT3_S4_llPKT2_PKS4_PKT4_PKT5_llPT6_ll16rocsparse_order_21rocsparse_index_base_
	.globl	_ZN9rocsparse31csrmmnn_row_split_shared_kernelILj256ELj8EfliDF16_DF16_fEEvNS_24const_host_device_scalarIT1_EES3_bbbT3_S4_llPKT2_PKS4_PKT4_PKT5_llPT6_ll16rocsparse_order_21rocsparse_index_base_
	.p2align	8
	.type	_ZN9rocsparse31csrmmnn_row_split_shared_kernelILj256ELj8EfliDF16_DF16_fEEvNS_24const_host_device_scalarIT1_EES3_bbbT3_S4_llPKT2_PKS4_PKT4_PKT5_llPT6_ll16rocsparse_order_21rocsparse_index_base_,@function
_ZN9rocsparse31csrmmnn_row_split_shared_kernelILj256ELj8EfliDF16_DF16_fEEvNS_24const_host_device_scalarIT1_EES3_bbbT3_S4_llPKT2_PKS4_PKT4_PKT5_llPT6_ll16rocsparse_order_21rocsparse_index_base_: ; @_ZN9rocsparse31csrmmnn_row_split_shared_kernelILj256ELj8EfliDF16_DF16_fEEvNS_24const_host_device_scalarIT1_EES3_bbbT3_S4_llPKT2_PKS4_PKT4_PKT5_llPT6_ll16rocsparse_order_21rocsparse_index_base_
; %bb.0:
	s_load_dwordx8 s[24:31], s[0:1], 0x0
	s_waitcnt lgkmcnt(0)
	s_bitcmp1_b32 s28, 0
	s_cselect_b64 s[8:9], -1, 0
	s_xor_b64 s[6:7], s[8:9], -1
	s_and_b64 vcc, exec, s[8:9]
	s_cbranch_vccnz .LBB13_2
; %bb.1:
	s_load_dword s24, s[24:25], 0x0
.LBB13_2:
	s_andn2_b64 vcc, exec, s[6:7]
	s_cbranch_vccnz .LBB13_4
; %bb.3:
	s_load_dword s26, s[26:27], 0x0
.LBB13_4:
	s_waitcnt lgkmcnt(0)
	v_cmp_eq_f32_e64 s[6:7], s24, 0
	v_cmp_eq_f32_e64 s[8:9], s26, 1.0
	s_and_b64 s[6:7], s[6:7], s[8:9]
	s_and_b64 vcc, exec, s[6:7]
	s_cbranch_vccnz .LBB13_21
; %bb.5:
	v_lshl_or_b32 v1, s2, 8, v0
	v_lshrrev_b32_e32 v14, 3, v1
	v_cmp_gt_i32_e32 vcc, s29, v14
	s_and_saveexec_b64 s[6:7], vcc
	s_cbranch_execz .LBB13_21
; %bb.6:
	s_load_dwordx16 s[8:23], s[0:1], 0x20
	s_ashr_i32 s5, s4, 31
	v_lshlrev_b32_e32 v1, 3, v14
	v_and_b32_e32 v8, 7, v0
	v_lshl_or_b32 v6, s3, 3, v8
	s_waitcnt lgkmcnt(0)
	s_mul_hi_u32 s2, s8, s4
	s_mul_i32 s7, s8, s5
	s_mul_i32 s9, s9, s4
	s_add_i32 s2, s2, s7
	s_mul_i32 s6, s8, s4
	s_add_i32 s7, s2, s9
	s_lshl_b64 s[6:7], s[6:7], 3
	s_add_u32 s6, s12, s6
	s_addc_u32 s7, s13, s7
	global_load_dwordx4 v[2:5], v1, s[6:7]
	s_load_dwordx2 s[6:7], s[0:1], 0x78
	v_ashrrev_i32_e32 v7, 31, v6
	v_mov_b32_e32 v19, 0
	s_waitcnt vmcnt(0)
	v_cmp_lt_i64_e32 vcc, v[2:3], v[4:5]
	s_and_saveexec_b64 s[8:9], vcc
	s_cbranch_execz .LBB13_14
; %bb.7:
	v_mad_u64_u32 v[24:25], s[2:3], s20, v6, 0
	v_lshlrev_b32_e32 v0, 2, v0
	v_mul_lo_u32 v1, s21, v6
	v_mul_lo_u32 v9, s20, v7
	v_and_b32_e32 v15, 0x3e0, v0
	s_mul_i32 s2, s22, s5
	s_mul_hi_u32 s3, s22, s4
	s_waitcnt lgkmcnt(0)
	v_subrev_co_u32_e32 v4, vcc, s7, v4
	v_mov_b32_e32 v22, s18
	v_mov_b32_e32 v23, s19
	v_add3_u32 v25, v25, v9, v1
	v_lshlrev_b32_e32 v0, 2, v8
	v_or_b32_e32 v17, 0x400, v15
	s_add_i32 s2, s3, s2
	s_mul_i32 s3, s23, s4
	v_subbrev_co_u32_e32 v5, vcc, 0, v5, vcc
	v_or_b32_e32 v16, v15, v0
	v_or_b32_e32 v18, v17, v0
	s_add_i32 s3, s2, s3
	s_mul_i32 s2, s22, s4
	v_lshl_add_u64 v[0:1], v[24:25], 1, v[22:23]
	v_subrev_co_u32_e32 v10, vcc, s7, v2
	v_lshl_add_u64 v[0:1], s[2:3], 1, v[0:1]
	s_mul_i32 s2, s11, s4
	s_mul_i32 s3, s10, s5
	v_mov_b32_e32 v19, s4
	v_subbrev_co_u32_e32 v11, vcc, 0, v3, vcc
	s_add_i32 s11, s3, s2
	v_mad_u64_u32 v[2:3], s[2:3], s10, v19, v[2:3]
	v_mov_b32_e32 v9, 0
	v_add_u32_e32 v3, s11, v3
	v_lshl_add_u64 v[2:3], v[2:3], 0, v[8:9]
	v_subrev_co_u32_e64 v22, s[2:3], s7, v2
	v_mov_b32_e32 v12, s14
	v_mov_b32_e32 v13, s15
	;; [unrolled: 1-line block ×4, first 2 shown]
	v_subbrev_co_u32_e64 v23, s[2:3], 0, v3, s[2:3]
	v_cmp_gt_i32_e32 vcc, s30, v6
	v_lshl_add_u64 v[2:3], v[22:23], 2, v[12:13]
	v_lshl_add_u64 v[12:13], v[22:23], 1, v[20:21]
	s_mov_b64 s[10:11], 0
	v_mov_b32_e32 v19, v9
	s_branch .LBB13_9
.LBB13_8:                               ;   in Loop: Header=BB13_9 Depth=1
	s_or_b64 exec, exec, s[2:3]
	v_lshl_add_u64 v[10:11], v[10:11], 0, 8
	v_cmp_ge_i64_e64 s[2:3], v[10:11], v[4:5]
	v_lshl_add_u64 v[2:3], v[2:3], 0, 32
	s_or_b64 s[10:11], s[2:3], s[10:11]
	v_lshl_add_u64 v[12:13], v[12:13], 0, 16
	s_andn2_b64 exec, exec, s[10:11]
	s_cbranch_execz .LBB13_13
.LBB13_9:                               ; =>This Inner Loop Header: Depth=1
	v_lshl_add_u64 v[20:21], v[8:9], 0, v[10:11]
	v_cmp_lt_i64_e64 s[2:3], v[20:21], v[4:5]
	v_mov_b32_e32 v21, 0
	v_mov_b32_e32 v20, 0
	s_barrier
	s_and_saveexec_b64 s[12:13], s[2:3]
	s_cbranch_execz .LBB13_11
; %bb.10:                               ;   in Loop: Header=BB13_9 Depth=1
	global_load_ushort v20, v[12:13], off
	global_load_dword v21, v[2:3], off
	s_waitcnt vmcnt(1)
	v_cvt_f32_f16_e32 v20, v20
	s_waitcnt vmcnt(0)
	v_subrev_u32_e32 v21, s7, v21
.LBB13_11:                              ;   in Loop: Header=BB13_9 Depth=1
	s_or_b64 exec, exec, s[12:13]
	ds_write_b32 v16, v21
	ds_write_b32 v18, v20
	s_waitcnt lgkmcnt(0)
	s_barrier
	s_and_saveexec_b64 s[2:3], vcc
	s_cbranch_execz .LBB13_8
; %bb.12:                               ;   in Loop: Header=BB13_9 Depth=1
	ds_read_b128 v[20:23], v15
	ds_read_b128 v[24:27], v15 offset:16
	s_waitcnt lgkmcnt(1)
	v_ashrrev_i32_e32 v29, 31, v20
	v_mov_b32_e32 v28, v20
	v_ashrrev_i32_e32 v31, 31, v21
	v_mov_b32_e32 v30, v21
	;; [unrolled: 2-line block ×3, first 2 shown]
	s_waitcnt lgkmcnt(0)
	v_ashrrev_i32_e32 v35, 31, v25
	v_mov_b32_e32 v34, v25
	v_lshl_add_u64 v[20:21], v[28:29], 1, v[0:1]
	v_lshl_add_u64 v[28:29], v[30:31], 1, v[0:1]
	v_ashrrev_i32_e32 v31, 31, v22
	v_mov_b32_e32 v30, v22
	v_lshl_add_u64 v[22:23], v[32:33], 1, v[0:1]
	v_ashrrev_i32_e32 v33, 31, v24
	v_mov_b32_e32 v32, v24
	;; [unrolled: 3-line block ×3, first 2 shown]
	v_ashrrev_i32_e32 v37, 31, v27
	v_mov_b32_e32 v36, v27
	v_lshl_add_u64 v[30:31], v[30:31], 1, v[0:1]
	v_lshl_add_u64 v[32:33], v[32:33], 1, v[0:1]
	;; [unrolled: 1-line block ×4, first 2 shown]
	global_load_ushort v36, v[20:21], off
	global_load_ushort v37, v[28:29], off
	;; [unrolled: 1-line block ×8, first 2 shown]
	ds_read_b128 v[20:23], v17
	ds_read_b128 v[24:27], v17 offset:16
	s_waitcnt vmcnt(7) lgkmcnt(1)
	v_fma_mix_f32 v19, v20, v36, v19 op_sel_hi:[0,1,0]
	s_waitcnt vmcnt(6)
	v_fma_mix_f32 v19, v21, v37, v19 op_sel_hi:[0,1,0]
	s_waitcnt vmcnt(5)
	v_fma_mix_f32 v19, v22, v38, v19 op_sel_hi:[0,1,0]
	s_waitcnt vmcnt(4)
	v_fma_mix_f32 v19, v23, v39, v19 op_sel_hi:[0,1,0]
	s_waitcnt vmcnt(3) lgkmcnt(0)
	v_fma_mix_f32 v19, v24, v40, v19 op_sel_hi:[0,1,0]
	s_waitcnt vmcnt(2)
	v_fma_mix_f32 v19, v25, v41, v19 op_sel_hi:[0,1,0]
	s_waitcnt vmcnt(1)
	;; [unrolled: 2-line block ×3, first 2 shown]
	v_fma_mix_f32 v19, v27, v43, v19 op_sel_hi:[0,1,0]
	s_branch .LBB13_8
.LBB13_13:
	s_or_b64 exec, exec, s[10:11]
.LBB13_14:
	s_or_b64 exec, exec, s[8:9]
	v_cmp_gt_i32_e32 vcc, s30, v6
	s_and_b64 exec, exec, vcc
	s_cbranch_execz .LBB13_21
; %bb.15:
	s_load_dwordx4 s[8:11], s[0:1], 0x60
	s_load_dwordx2 s[14:15], s[0:1], 0x70
	v_cmp_neq_f32_e64 s[0:1], s26, 0
	s_waitcnt lgkmcnt(0)
	s_cmp_lg_u32 s6, 1
	s_cselect_b64 s[2:3], -1, 0
	s_and_b64 vcc, exec, s[0:1]
	v_mul_f32_e32 v0, s24, v19
	s_mul_i32 s6, s14, s5
	s_mul_hi_u32 s7, s14, s4
	s_mul_i32 s12, s15, s4
	s_mul_i32 s0, s14, s4
	s_cbranch_vccz .LBB13_22
; %bb.16:
	s_add_i32 s1, s7, s6
	s_add_i32 s1, s1, s12
	s_mov_b64 s[4:5], -1
	s_and_b64 vcc, exec, s[2:3]
	s_cbranch_vccz .LBB13_18
; %bb.17:
	v_mad_u64_u32 v[2:3], s[4:5], s10, v14, 0
	v_mov_b32_e32 v4, v3
	v_mad_u64_u32 v[4:5], s[4:5], s11, v14, v[4:5]
	v_mov_b32_e32 v3, v4
	v_lshl_add_u64 v[2:3], v[2:3], 2, s[8:9]
	v_lshl_add_u64 v[2:3], v[6:7], 2, v[2:3]
	;; [unrolled: 1-line block ×3, first 2 shown]
	global_load_dword v1, v[2:3], off
	s_mov_b64 s[4:5], 0
	s_waitcnt vmcnt(0)
	v_fma_f32 v1, s26, v1, v0
	global_store_dword v[2:3], v1, off
.LBB13_18:
	s_andn2_b64 vcc, exec, s[4:5]
	s_cbranch_vccnz .LBB13_20
; %bb.19:
	v_mul_lo_u32 v1, s11, v6
	v_mul_lo_u32 v4, s10, v7
	v_mad_u64_u32 v[2:3], s[4:5], s10, v6, 0
	v_add3_u32 v3, v3, v4, v1
	v_lshl_add_u64 v[2:3], v[2:3], 2, s[8:9]
	v_lshlrev_b32_e32 v4, 2, v14
	v_mov_b32_e32 v5, 0
	v_lshl_add_u64 v[2:3], v[2:3], 0, v[4:5]
	v_lshl_add_u64 v[2:3], s[0:1], 2, v[2:3]
	global_load_dword v1, v[2:3], off
	s_waitcnt vmcnt(0)
	v_fma_f32 v1, s26, v1, v0
	global_store_dword v[2:3], v1, off
.LBB13_20:
	s_cbranch_execz .LBB13_23
.LBB13_21:
	s_endpgm
.LBB13_22:
.LBB13_23:
	s_add_i32 s1, s7, s6
	s_add_i32 s1, s1, s12
	s_mov_b64 s[4:5], -1
	s_and_b64 vcc, exec, s[2:3]
	s_cbranch_vccz .LBB13_25
; %bb.24:
	v_mad_u64_u32 v[2:3], s[2:3], s10, v14, 0
	v_mov_b32_e32 v4, v3
	v_mad_u64_u32 v[4:5], s[2:3], s11, v14, v[4:5]
	v_mov_b32_e32 v3, v4
	v_lshl_add_u64 v[2:3], v[2:3], 2, s[8:9]
	v_lshl_add_u64 v[2:3], v[6:7], 2, v[2:3]
	;; [unrolled: 1-line block ×3, first 2 shown]
	global_store_dword v[2:3], v0, off
	s_mov_b64 s[4:5], 0
.LBB13_25:
	s_andn2_b64 vcc, exec, s[4:5]
	s_cbranch_vccnz .LBB13_21
; %bb.26:
	v_mul_lo_u32 v1, s11, v6
	v_mul_lo_u32 v4, s10, v7
	v_mad_u64_u32 v[2:3], s[2:3], s10, v6, 0
	v_add3_u32 v3, v3, v4, v1
	v_lshl_add_u64 v[2:3], v[2:3], 2, s[8:9]
	v_lshlrev_b32_e32 v4, 2, v14
	v_mov_b32_e32 v5, 0
	v_lshl_add_u64 v[2:3], v[2:3], 0, v[4:5]
	v_lshl_add_u64 v[2:3], s[0:1], 2, v[2:3]
	global_store_dword v[2:3], v0, off
	s_endpgm
	.section	.rodata,"a",@progbits
	.p2align	6, 0x0
	.amdhsa_kernel _ZN9rocsparse31csrmmnn_row_split_shared_kernelILj256ELj8EfliDF16_DF16_fEEvNS_24const_host_device_scalarIT1_EES3_bbbT3_S4_llPKT2_PKS4_PKT4_PKT5_llPT6_ll16rocsparse_order_21rocsparse_index_base_
		.amdhsa_group_segment_fixed_size 2048
		.amdhsa_private_segment_fixed_size 0
		.amdhsa_kernarg_size 128
		.amdhsa_user_sgpr_count 2
		.amdhsa_user_sgpr_dispatch_ptr 0
		.amdhsa_user_sgpr_queue_ptr 0
		.amdhsa_user_sgpr_kernarg_segment_ptr 1
		.amdhsa_user_sgpr_dispatch_id 0
		.amdhsa_user_sgpr_kernarg_preload_length 0
		.amdhsa_user_sgpr_kernarg_preload_offset 0
		.amdhsa_user_sgpr_private_segment_size 0
		.amdhsa_uses_dynamic_stack 0
		.amdhsa_enable_private_segment 0
		.amdhsa_system_sgpr_workgroup_id_x 1
		.amdhsa_system_sgpr_workgroup_id_y 1
		.amdhsa_system_sgpr_workgroup_id_z 1
		.amdhsa_system_sgpr_workgroup_info 0
		.amdhsa_system_vgpr_workitem_id 0
		.amdhsa_next_free_vgpr 44
		.amdhsa_next_free_sgpr 32
		.amdhsa_accum_offset 44
		.amdhsa_reserve_vcc 1
		.amdhsa_float_round_mode_32 0
		.amdhsa_float_round_mode_16_64 0
		.amdhsa_float_denorm_mode_32 3
		.amdhsa_float_denorm_mode_16_64 3
		.amdhsa_dx10_clamp 1
		.amdhsa_ieee_mode 1
		.amdhsa_fp16_overflow 0
		.amdhsa_tg_split 0
		.amdhsa_exception_fp_ieee_invalid_op 0
		.amdhsa_exception_fp_denorm_src 0
		.amdhsa_exception_fp_ieee_div_zero 0
		.amdhsa_exception_fp_ieee_overflow 0
		.amdhsa_exception_fp_ieee_underflow 0
		.amdhsa_exception_fp_ieee_inexact 0
		.amdhsa_exception_int_div_zero 0
	.end_amdhsa_kernel
	.section	.text._ZN9rocsparse31csrmmnn_row_split_shared_kernelILj256ELj8EfliDF16_DF16_fEEvNS_24const_host_device_scalarIT1_EES3_bbbT3_S4_llPKT2_PKS4_PKT4_PKT5_llPT6_ll16rocsparse_order_21rocsparse_index_base_,"axG",@progbits,_ZN9rocsparse31csrmmnn_row_split_shared_kernelILj256ELj8EfliDF16_DF16_fEEvNS_24const_host_device_scalarIT1_EES3_bbbT3_S4_llPKT2_PKS4_PKT4_PKT5_llPT6_ll16rocsparse_order_21rocsparse_index_base_,comdat
.Lfunc_end13:
	.size	_ZN9rocsparse31csrmmnn_row_split_shared_kernelILj256ELj8EfliDF16_DF16_fEEvNS_24const_host_device_scalarIT1_EES3_bbbT3_S4_llPKT2_PKS4_PKT4_PKT5_llPT6_ll16rocsparse_order_21rocsparse_index_base_, .Lfunc_end13-_ZN9rocsparse31csrmmnn_row_split_shared_kernelILj256ELj8EfliDF16_DF16_fEEvNS_24const_host_device_scalarIT1_EES3_bbbT3_S4_llPKT2_PKS4_PKT4_PKT5_llPT6_ll16rocsparse_order_21rocsparse_index_base_
                                        ; -- End function
	.set _ZN9rocsparse31csrmmnn_row_split_shared_kernelILj256ELj8EfliDF16_DF16_fEEvNS_24const_host_device_scalarIT1_EES3_bbbT3_S4_llPKT2_PKS4_PKT4_PKT5_llPT6_ll16rocsparse_order_21rocsparse_index_base_.num_vgpr, 44
	.set _ZN9rocsparse31csrmmnn_row_split_shared_kernelILj256ELj8EfliDF16_DF16_fEEvNS_24const_host_device_scalarIT1_EES3_bbbT3_S4_llPKT2_PKS4_PKT4_PKT5_llPT6_ll16rocsparse_order_21rocsparse_index_base_.num_agpr, 0
	.set _ZN9rocsparse31csrmmnn_row_split_shared_kernelILj256ELj8EfliDF16_DF16_fEEvNS_24const_host_device_scalarIT1_EES3_bbbT3_S4_llPKT2_PKS4_PKT4_PKT5_llPT6_ll16rocsparse_order_21rocsparse_index_base_.numbered_sgpr, 32
	.set _ZN9rocsparse31csrmmnn_row_split_shared_kernelILj256ELj8EfliDF16_DF16_fEEvNS_24const_host_device_scalarIT1_EES3_bbbT3_S4_llPKT2_PKS4_PKT4_PKT5_llPT6_ll16rocsparse_order_21rocsparse_index_base_.num_named_barrier, 0
	.set _ZN9rocsparse31csrmmnn_row_split_shared_kernelILj256ELj8EfliDF16_DF16_fEEvNS_24const_host_device_scalarIT1_EES3_bbbT3_S4_llPKT2_PKS4_PKT4_PKT5_llPT6_ll16rocsparse_order_21rocsparse_index_base_.private_seg_size, 0
	.set _ZN9rocsparse31csrmmnn_row_split_shared_kernelILj256ELj8EfliDF16_DF16_fEEvNS_24const_host_device_scalarIT1_EES3_bbbT3_S4_llPKT2_PKS4_PKT4_PKT5_llPT6_ll16rocsparse_order_21rocsparse_index_base_.uses_vcc, 1
	.set _ZN9rocsparse31csrmmnn_row_split_shared_kernelILj256ELj8EfliDF16_DF16_fEEvNS_24const_host_device_scalarIT1_EES3_bbbT3_S4_llPKT2_PKS4_PKT4_PKT5_llPT6_ll16rocsparse_order_21rocsparse_index_base_.uses_flat_scratch, 0
	.set _ZN9rocsparse31csrmmnn_row_split_shared_kernelILj256ELj8EfliDF16_DF16_fEEvNS_24const_host_device_scalarIT1_EES3_bbbT3_S4_llPKT2_PKS4_PKT4_PKT5_llPT6_ll16rocsparse_order_21rocsparse_index_base_.has_dyn_sized_stack, 0
	.set _ZN9rocsparse31csrmmnn_row_split_shared_kernelILj256ELj8EfliDF16_DF16_fEEvNS_24const_host_device_scalarIT1_EES3_bbbT3_S4_llPKT2_PKS4_PKT4_PKT5_llPT6_ll16rocsparse_order_21rocsparse_index_base_.has_recursion, 0
	.set _ZN9rocsparse31csrmmnn_row_split_shared_kernelILj256ELj8EfliDF16_DF16_fEEvNS_24const_host_device_scalarIT1_EES3_bbbT3_S4_llPKT2_PKS4_PKT4_PKT5_llPT6_ll16rocsparse_order_21rocsparse_index_base_.has_indirect_call, 0
	.section	.AMDGPU.csdata,"",@progbits
; Kernel info:
; codeLenInByte = 1396
; TotalNumSgprs: 38
; NumVgprs: 44
; NumAgprs: 0
; TotalNumVgprs: 44
; ScratchSize: 0
; MemoryBound: 0
; FloatMode: 240
; IeeeMode: 1
; LDSByteSize: 2048 bytes/workgroup (compile time only)
; SGPRBlocks: 4
; VGPRBlocks: 5
; NumSGPRsForWavesPerEU: 38
; NumVGPRsForWavesPerEU: 44
; AccumOffset: 44
; Occupancy: 8
; WaveLimiterHint : 1
; COMPUTE_PGM_RSRC2:SCRATCH_EN: 0
; COMPUTE_PGM_RSRC2:USER_SGPR: 2
; COMPUTE_PGM_RSRC2:TRAP_HANDLER: 0
; COMPUTE_PGM_RSRC2:TGID_X_EN: 1
; COMPUTE_PGM_RSRC2:TGID_Y_EN: 1
; COMPUTE_PGM_RSRC2:TGID_Z_EN: 1
; COMPUTE_PGM_RSRC2:TIDIG_COMP_CNT: 0
; COMPUTE_PGM_RSRC3_GFX90A:ACCUM_OFFSET: 10
; COMPUTE_PGM_RSRC3_GFX90A:TG_SPLIT: 0
	.section	.text._ZN9rocsparse31csrmmnn_row_split_shared_kernelILj256ELj8EfllDF16_DF16_fEEvNS_24const_host_device_scalarIT1_EES3_bbbT3_S4_llPKT2_PKS4_PKT4_PKT5_llPT6_ll16rocsparse_order_21rocsparse_index_base_,"axG",@progbits,_ZN9rocsparse31csrmmnn_row_split_shared_kernelILj256ELj8EfllDF16_DF16_fEEvNS_24const_host_device_scalarIT1_EES3_bbbT3_S4_llPKT2_PKS4_PKT4_PKT5_llPT6_ll16rocsparse_order_21rocsparse_index_base_,comdat
	.protected	_ZN9rocsparse31csrmmnn_row_split_shared_kernelILj256ELj8EfllDF16_DF16_fEEvNS_24const_host_device_scalarIT1_EES3_bbbT3_S4_llPKT2_PKS4_PKT4_PKT5_llPT6_ll16rocsparse_order_21rocsparse_index_base_ ; -- Begin function _ZN9rocsparse31csrmmnn_row_split_shared_kernelILj256ELj8EfllDF16_DF16_fEEvNS_24const_host_device_scalarIT1_EES3_bbbT3_S4_llPKT2_PKS4_PKT4_PKT5_llPT6_ll16rocsparse_order_21rocsparse_index_base_
	.globl	_ZN9rocsparse31csrmmnn_row_split_shared_kernelILj256ELj8EfllDF16_DF16_fEEvNS_24const_host_device_scalarIT1_EES3_bbbT3_S4_llPKT2_PKS4_PKT4_PKT5_llPT6_ll16rocsparse_order_21rocsparse_index_base_
	.p2align	8
	.type	_ZN9rocsparse31csrmmnn_row_split_shared_kernelILj256ELj8EfllDF16_DF16_fEEvNS_24const_host_device_scalarIT1_EES3_bbbT3_S4_llPKT2_PKS4_PKT4_PKT5_llPT6_ll16rocsparse_order_21rocsparse_index_base_,@function
_ZN9rocsparse31csrmmnn_row_split_shared_kernelILj256ELj8EfllDF16_DF16_fEEvNS_24const_host_device_scalarIT1_EES3_bbbT3_S4_llPKT2_PKS4_PKT4_PKT5_llPT6_ll16rocsparse_order_21rocsparse_index_base_: ; @_ZN9rocsparse31csrmmnn_row_split_shared_kernelILj256ELj8EfllDF16_DF16_fEEvNS_24const_host_device_scalarIT1_EES3_bbbT3_S4_llPKT2_PKS4_PKT4_PKT5_llPT6_ll16rocsparse_order_21rocsparse_index_base_
; %bb.0:
	s_load_dword s5, s[0:1], 0x10
	s_load_dwordx4 s[36:39], s[0:1], 0x0
	s_waitcnt lgkmcnt(0)
	s_bitcmp1_b32 s5, 0
	s_cselect_b64 s[8:9], -1, 0
	s_xor_b64 s[6:7], s[8:9], -1
	s_and_b64 vcc, exec, s[8:9]
	s_cbranch_vccnz .LBB14_2
; %bb.1:
	s_load_dword s36, s[36:37], 0x0
.LBB14_2:
	s_andn2_b64 vcc, exec, s[6:7]
	s_cbranch_vccnz .LBB14_4
; %bb.3:
	s_load_dword s38, s[38:39], 0x0
.LBB14_4:
	s_waitcnt lgkmcnt(0)
	v_cmp_eq_f32_e64 s[6:7], s36, 0
	v_cmp_eq_f32_e64 s[8:9], s38, 1.0
	s_and_b64 s[6:7], s[6:7], s[8:9]
	s_and_b64 vcc, exec, s[6:7]
	s_cbranch_vccnz .LBB14_21
; %bb.5:
	s_load_dwordx16 s[8:23], s[0:1], 0x18
	v_lshl_or_b32 v1, s2, 8, v0
	v_lshrrev_b32_e32 v6, 3, v1
	v_mov_b32_e32 v7, 0
	s_waitcnt lgkmcnt(0)
	v_cmp_gt_i64_e32 vcc, s[8:9], v[6:7]
	s_and_saveexec_b64 s[6:7], vcc
	s_cbranch_execz .LBB14_21
; %bb.6:
	s_mul_i32 s2, s13, s4
	s_mul_hi_u32 s5, s12, s4
	s_add_i32 s7, s5, s2
	s_mul_i32 s6, s12, s4
	s_lshl_b64 s[6:7], s[6:7], 3
	s_add_u32 s6, s16, s6
	s_addc_u32 s7, s17, s7
	v_lshlrev_b32_e32 v1, 3, v6
	global_load_dwordx4 v[2:5], v1, s[6:7]
	s_load_dwordx8 s[24:31], s[0:1], 0x58
	s_load_dwordx4 s[40:43], s[0:1], 0x78
	v_and_b32_e32 v10, 7, v0
	v_lshl_or_b32 v8, s3, 3, v10
	v_mov_b32_e32 v9, v7
	s_waitcnt vmcnt(0)
	v_cmp_lt_i64_e32 vcc, v[2:3], v[4:5]
	s_and_saveexec_b64 s[2:3], vcc
	s_cbranch_execz .LBB14_14
; %bb.7:
	s_waitcnt lgkmcnt(0)
	v_mad_u64_u32 v[22:23], s[0:1], s24, v8, 0
	v_mov_b32_e32 v18, v23
	v_subrev_co_u32_e32 v4, vcc, s43, v4
	v_mad_u64_u32 v[18:19], s[0:1], s25, v8, v[18:19]
	s_nop 0
	v_subbrev_co_u32_e32 v5, vcc, 0, v5, vcc
	v_lshrrev_b32_e32 v7, 3, v0
	v_mov_b32_e32 v12, s22
	v_mov_b32_e32 v13, s23
	;; [unrolled: 1-line block ×4, first 2 shown]
	s_mul_i32 s0, s27, s4
	s_mul_hi_u32 s1, s26, s4
	v_subrev_co_u32_e32 v0, vcc, s43, v2
	v_lshlrev_b32_e32 v18, 6, v7
	v_lshl_or_b32 v20, v7, 5, v20
	s_add_i32 s1, s1, s0
	s_mul_i32 s0, s26, s4
	v_lshl_add_u64 v[12:13], v[22:23], 1, v[12:13]
	v_mov_b32_e32 v7, s4
	v_subbrev_co_u32_e32 v1, vcc, 0, v3, vcc
	v_lshl_add_u64 v[12:13], s[0:1], 1, v[12:13]
	v_mad_u64_u32 v[2:3], s[0:1], s14, v7, v[2:3]
	s_mul_i32 s0, s15, s4
	v_mov_b32_e32 v11, 0
	v_add_u32_e32 v3, s0, v3
	v_lshl_add_u64 v[2:3], v[2:3], 0, v[10:11]
	v_subrev_co_u32_e64 v22, s[0:1], s43, v2
	v_mov_b32_e32 v14, s18
	v_mov_b32_e32 v15, s19
	;; [unrolled: 1-line block ×4, first 2 shown]
	v_subbrev_co_u32_e64 v23, s[0:1], 0, v3, s[0:1]
	s_mov_b32 s5, s43
	v_lshl_or_b32 v19, v10, 3, v18
	v_lshl_or_b32 v21, v10, 2, v20
	v_cmp_gt_i64_e32 vcc, s[10:11], v[8:9]
	v_lshl_add_u64 v[2:3], v[22:23], 3, v[14:15]
	v_lshl_add_u64 v[14:15], v[22:23], 1, v[16:17]
	s_mov_b64 s[6:7], 0
	v_mov_b32_e32 v7, v11
	s_branch .LBB14_9
.LBB14_8:                               ;   in Loop: Header=BB14_9 Depth=1
	s_or_b64 exec, exec, s[0:1]
	v_lshl_add_u64 v[0:1], v[0:1], 0, 8
	v_cmp_ge_i64_e64 s[0:1], v[0:1], v[4:5]
	v_lshl_add_u64 v[2:3], v[2:3], 0, 64
	s_or_b64 s[6:7], s[0:1], s[6:7]
	v_lshl_add_u64 v[14:15], v[14:15], 0, 16
	s_andn2_b64 exec, exec, s[6:7]
	s_cbranch_execz .LBB14_13
.LBB14_9:                               ; =>This Inner Loop Header: Depth=1
	v_lshl_add_u64 v[16:17], v[10:11], 0, v[0:1]
	v_cmp_lt_i64_e64 s[0:1], v[16:17], v[4:5]
	v_mov_b64_e32 v[16:17], 0
	v_mov_b32_e32 v22, 0
	s_barrier
	s_and_saveexec_b64 s[8:9], s[0:1]
	s_cbranch_execz .LBB14_11
; %bb.10:                               ;   in Loop: Header=BB14_9 Depth=1
	global_load_ushort v22, v[14:15], off
	global_load_dwordx2 v[16:17], v[2:3], off
	s_waitcnt vmcnt(1)
	v_cvt_f32_f16_e32 v22, v22
	s_waitcnt vmcnt(0)
	v_subrev_co_u32_e64 v16, s[0:1], s5, v16
	s_nop 1
	v_subbrev_co_u32_e64 v17, s[0:1], 0, v17, s[0:1]
.LBB14_11:                              ;   in Loop: Header=BB14_9 Depth=1
	s_or_b64 exec, exec, s[8:9]
	ds_write_b64 v19, v[16:17]
	ds_write_b32 v21, v22
	s_waitcnt lgkmcnt(0)
	s_barrier
	s_and_saveexec_b64 s[0:1], vcc
	s_cbranch_execz .LBB14_8
; %bb.12:                               ;   in Loop: Header=BB14_9 Depth=1
	ds_read_b128 v[22:25], v18
	ds_read_b128 v[26:29], v18 offset:16
	ds_read_b128 v[30:33], v18 offset:32
	;; [unrolled: 1-line block ×3, first 2 shown]
	s_waitcnt lgkmcnt(3)
	v_lshl_add_u64 v[16:17], v[22:23], 1, v[12:13]
	v_lshl_add_u64 v[22:23], v[24:25], 1, v[12:13]
	s_waitcnt lgkmcnt(2)
	v_lshl_add_u64 v[24:25], v[26:27], 1, v[12:13]
	v_lshl_add_u64 v[26:27], v[28:29], 1, v[12:13]
	;; [unrolled: 3-line block ×4, first 2 shown]
	global_load_ushort v36, v[16:17], off
	global_load_ushort v37, v[22:23], off
	global_load_ushort v38, v[24:25], off
	global_load_ushort v39, v[26:27], off
	global_load_ushort v40, v[28:29], off
	global_load_ushort v41, v[30:31], off
	global_load_ushort v42, v[32:33], off
	global_load_ushort v43, v[34:35], off
	ds_read_b128 v[22:25], v20
	ds_read_b128 v[26:29], v20 offset:16
	s_waitcnt vmcnt(7) lgkmcnt(1)
	v_fma_mix_f32 v7, v22, v36, v7 op_sel_hi:[0,1,0]
	s_waitcnt vmcnt(6)
	v_fma_mix_f32 v7, v23, v37, v7 op_sel_hi:[0,1,0]
	s_waitcnt vmcnt(5)
	;; [unrolled: 2-line block ×3, first 2 shown]
	v_fma_mix_f32 v7, v25, v39, v7 op_sel_hi:[0,1,0]
	s_waitcnt vmcnt(3) lgkmcnt(0)
	v_fma_mix_f32 v7, v26, v40, v7 op_sel_hi:[0,1,0]
	s_waitcnt vmcnt(2)
	v_fma_mix_f32 v7, v27, v41, v7 op_sel_hi:[0,1,0]
	s_waitcnt vmcnt(1)
	;; [unrolled: 2-line block ×3, first 2 shown]
	v_fma_mix_f32 v7, v29, v43, v7 op_sel_hi:[0,1,0]
	s_branch .LBB14_8
.LBB14_13:
	s_or_b64 exec, exec, s[6:7]
.LBB14_14:
	s_or_b64 exec, exec, s[2:3]
	v_cmp_gt_i64_e32 vcc, s[10:11], v[8:9]
	s_and_b64 exec, exec, vcc
	s_cbranch_execz .LBB14_21
; %bb.15:
	v_cmp_neq_f32_e64 s[0:1], s38, 0
	s_waitcnt lgkmcnt(0)
	s_cmp_lg_u32 s42, 1
	s_cselect_b64 s[2:3], -1, 0
	s_and_b64 vcc, exec, s[0:1]
	v_mul_f32_e32 v0, s36, v7
	s_mul_i32 s6, s41, s4
	s_mul_hi_u32 s7, s40, s4
	s_mul_i32 s0, s40, s4
	s_cbranch_vccz .LBB14_22
; %bb.16:
	s_add_i32 s1, s7, s6
	s_mov_b64 s[4:5], -1
	s_and_b64 vcc, exec, s[2:3]
	s_cbranch_vccz .LBB14_18
; %bb.17:
	v_mad_u64_u32 v[2:3], s[4:5], s30, v6, 0
	v_mov_b32_e32 v4, v3
	v_mad_u64_u32 v[4:5], s[4:5], s31, v6, v[4:5]
	v_mov_b32_e32 v3, v4
	v_lshl_add_u64 v[2:3], v[2:3], 2, s[28:29]
	v_lshl_add_u64 v[2:3], v[8:9], 2, v[2:3]
	;; [unrolled: 1-line block ×3, first 2 shown]
	global_load_dword v1, v[2:3], off
	s_mov_b64 s[4:5], 0
	s_waitcnt vmcnt(0)
	v_fma_f32 v1, s38, v1, v0
	global_store_dword v[2:3], v1, off
.LBB14_18:
	s_andn2_b64 vcc, exec, s[4:5]
	s_cbranch_vccnz .LBB14_20
; %bb.19:
	v_mad_u64_u32 v[2:3], s[4:5], s30, v8, 0
	v_mov_b32_e32 v4, v3
	v_mad_u64_u32 v[4:5], s[4:5], s31, v8, v[4:5]
	v_mov_b32_e32 v3, v4
	v_lshl_add_u64 v[2:3], v[2:3], 2, s[28:29]
	v_lshlrev_b32_e32 v4, 2, v6
	v_mov_b32_e32 v5, 0
	v_lshl_add_u64 v[2:3], v[2:3], 0, v[4:5]
	v_lshl_add_u64 v[2:3], s[0:1], 2, v[2:3]
	global_load_dword v1, v[2:3], off
	s_waitcnt vmcnt(0)
	v_fma_f32 v1, s38, v1, v0
	global_store_dword v[2:3], v1, off
.LBB14_20:
	s_cbranch_execz .LBB14_23
.LBB14_21:
	s_endpgm
.LBB14_22:
.LBB14_23:
	s_add_i32 s1, s7, s6
	s_mov_b64 s[4:5], -1
	s_and_b64 vcc, exec, s[2:3]
	s_cbranch_vccz .LBB14_25
; %bb.24:
	v_mad_u64_u32 v[2:3], s[2:3], s30, v6, 0
	v_mov_b32_e32 v4, v3
	v_mad_u64_u32 v[4:5], s[2:3], s31, v6, v[4:5]
	v_mov_b32_e32 v3, v4
	v_lshl_add_u64 v[2:3], v[2:3], 2, s[28:29]
	v_lshl_add_u64 v[2:3], v[8:9], 2, v[2:3]
	;; [unrolled: 1-line block ×3, first 2 shown]
	global_store_dword v[2:3], v0, off
	s_mov_b64 s[4:5], 0
.LBB14_25:
	s_andn2_b64 vcc, exec, s[4:5]
	s_cbranch_vccnz .LBB14_21
; %bb.26:
	v_mad_u64_u32 v[2:3], s[2:3], s30, v8, 0
	v_mov_b32_e32 v4, v3
	v_mad_u64_u32 v[4:5], s[2:3], s31, v8, v[4:5]
	v_mov_b32_e32 v3, v4
	v_lshl_add_u64 v[2:3], v[2:3], 2, s[28:29]
	v_lshlrev_b32_e32 v4, 2, v6
	v_mov_b32_e32 v5, 0
	v_lshl_add_u64 v[2:3], v[2:3], 0, v[4:5]
	v_lshl_add_u64 v[2:3], s[0:1], 2, v[2:3]
	global_store_dword v[2:3], v0, off
	s_endpgm
	.section	.rodata,"a",@progbits
	.p2align	6, 0x0
	.amdhsa_kernel _ZN9rocsparse31csrmmnn_row_split_shared_kernelILj256ELj8EfllDF16_DF16_fEEvNS_24const_host_device_scalarIT1_EES3_bbbT3_S4_llPKT2_PKS4_PKT4_PKT5_llPT6_ll16rocsparse_order_21rocsparse_index_base_
		.amdhsa_group_segment_fixed_size 3072
		.amdhsa_private_segment_fixed_size 0
		.amdhsa_kernarg_size 136
		.amdhsa_user_sgpr_count 2
		.amdhsa_user_sgpr_dispatch_ptr 0
		.amdhsa_user_sgpr_queue_ptr 0
		.amdhsa_user_sgpr_kernarg_segment_ptr 1
		.amdhsa_user_sgpr_dispatch_id 0
		.amdhsa_user_sgpr_kernarg_preload_length 0
		.amdhsa_user_sgpr_kernarg_preload_offset 0
		.amdhsa_user_sgpr_private_segment_size 0
		.amdhsa_uses_dynamic_stack 0
		.amdhsa_enable_private_segment 0
		.amdhsa_system_sgpr_workgroup_id_x 1
		.amdhsa_system_sgpr_workgroup_id_y 1
		.amdhsa_system_sgpr_workgroup_id_z 1
		.amdhsa_system_sgpr_workgroup_info 0
		.amdhsa_system_vgpr_workitem_id 0
		.amdhsa_next_free_vgpr 44
		.amdhsa_next_free_sgpr 44
		.amdhsa_accum_offset 44
		.amdhsa_reserve_vcc 1
		.amdhsa_float_round_mode_32 0
		.amdhsa_float_round_mode_16_64 0
		.amdhsa_float_denorm_mode_32 3
		.amdhsa_float_denorm_mode_16_64 3
		.amdhsa_dx10_clamp 1
		.amdhsa_ieee_mode 1
		.amdhsa_fp16_overflow 0
		.amdhsa_tg_split 0
		.amdhsa_exception_fp_ieee_invalid_op 0
		.amdhsa_exception_fp_denorm_src 0
		.amdhsa_exception_fp_ieee_div_zero 0
		.amdhsa_exception_fp_ieee_overflow 0
		.amdhsa_exception_fp_ieee_underflow 0
		.amdhsa_exception_fp_ieee_inexact 0
		.amdhsa_exception_int_div_zero 0
	.end_amdhsa_kernel
	.section	.text._ZN9rocsparse31csrmmnn_row_split_shared_kernelILj256ELj8EfllDF16_DF16_fEEvNS_24const_host_device_scalarIT1_EES3_bbbT3_S4_llPKT2_PKS4_PKT4_PKT5_llPT6_ll16rocsparse_order_21rocsparse_index_base_,"axG",@progbits,_ZN9rocsparse31csrmmnn_row_split_shared_kernelILj256ELj8EfllDF16_DF16_fEEvNS_24const_host_device_scalarIT1_EES3_bbbT3_S4_llPKT2_PKS4_PKT4_PKT5_llPT6_ll16rocsparse_order_21rocsparse_index_base_,comdat
.Lfunc_end14:
	.size	_ZN9rocsparse31csrmmnn_row_split_shared_kernelILj256ELj8EfllDF16_DF16_fEEvNS_24const_host_device_scalarIT1_EES3_bbbT3_S4_llPKT2_PKS4_PKT4_PKT5_llPT6_ll16rocsparse_order_21rocsparse_index_base_, .Lfunc_end14-_ZN9rocsparse31csrmmnn_row_split_shared_kernelILj256ELj8EfllDF16_DF16_fEEvNS_24const_host_device_scalarIT1_EES3_bbbT3_S4_llPKT2_PKS4_PKT4_PKT5_llPT6_ll16rocsparse_order_21rocsparse_index_base_
                                        ; -- End function
	.set _ZN9rocsparse31csrmmnn_row_split_shared_kernelILj256ELj8EfllDF16_DF16_fEEvNS_24const_host_device_scalarIT1_EES3_bbbT3_S4_llPKT2_PKS4_PKT4_PKT5_llPT6_ll16rocsparse_order_21rocsparse_index_base_.num_vgpr, 44
	.set _ZN9rocsparse31csrmmnn_row_split_shared_kernelILj256ELj8EfllDF16_DF16_fEEvNS_24const_host_device_scalarIT1_EES3_bbbT3_S4_llPKT2_PKS4_PKT4_PKT5_llPT6_ll16rocsparse_order_21rocsparse_index_base_.num_agpr, 0
	.set _ZN9rocsparse31csrmmnn_row_split_shared_kernelILj256ELj8EfllDF16_DF16_fEEvNS_24const_host_device_scalarIT1_EES3_bbbT3_S4_llPKT2_PKS4_PKT4_PKT5_llPT6_ll16rocsparse_order_21rocsparse_index_base_.numbered_sgpr, 44
	.set _ZN9rocsparse31csrmmnn_row_split_shared_kernelILj256ELj8EfllDF16_DF16_fEEvNS_24const_host_device_scalarIT1_EES3_bbbT3_S4_llPKT2_PKS4_PKT4_PKT5_llPT6_ll16rocsparse_order_21rocsparse_index_base_.num_named_barrier, 0
	.set _ZN9rocsparse31csrmmnn_row_split_shared_kernelILj256ELj8EfllDF16_DF16_fEEvNS_24const_host_device_scalarIT1_EES3_bbbT3_S4_llPKT2_PKS4_PKT4_PKT5_llPT6_ll16rocsparse_order_21rocsparse_index_base_.private_seg_size, 0
	.set _ZN9rocsparse31csrmmnn_row_split_shared_kernelILj256ELj8EfllDF16_DF16_fEEvNS_24const_host_device_scalarIT1_EES3_bbbT3_S4_llPKT2_PKS4_PKT4_PKT5_llPT6_ll16rocsparse_order_21rocsparse_index_base_.uses_vcc, 1
	.set _ZN9rocsparse31csrmmnn_row_split_shared_kernelILj256ELj8EfllDF16_DF16_fEEvNS_24const_host_device_scalarIT1_EES3_bbbT3_S4_llPKT2_PKS4_PKT4_PKT5_llPT6_ll16rocsparse_order_21rocsparse_index_base_.uses_flat_scratch, 0
	.set _ZN9rocsparse31csrmmnn_row_split_shared_kernelILj256ELj8EfllDF16_DF16_fEEvNS_24const_host_device_scalarIT1_EES3_bbbT3_S4_llPKT2_PKS4_PKT4_PKT5_llPT6_ll16rocsparse_order_21rocsparse_index_base_.has_dyn_sized_stack, 0
	.set _ZN9rocsparse31csrmmnn_row_split_shared_kernelILj256ELj8EfllDF16_DF16_fEEvNS_24const_host_device_scalarIT1_EES3_bbbT3_S4_llPKT2_PKS4_PKT4_PKT5_llPT6_ll16rocsparse_order_21rocsparse_index_base_.has_recursion, 0
	.set _ZN9rocsparse31csrmmnn_row_split_shared_kernelILj256ELj8EfllDF16_DF16_fEEvNS_24const_host_device_scalarIT1_EES3_bbbT3_S4_llPKT2_PKS4_PKT4_PKT5_llPT6_ll16rocsparse_order_21rocsparse_index_base_.has_indirect_call, 0
	.section	.AMDGPU.csdata,"",@progbits
; Kernel info:
; codeLenInByte = 1324
; TotalNumSgprs: 50
; NumVgprs: 44
; NumAgprs: 0
; TotalNumVgprs: 44
; ScratchSize: 0
; MemoryBound: 1
; FloatMode: 240
; IeeeMode: 1
; LDSByteSize: 3072 bytes/workgroup (compile time only)
; SGPRBlocks: 6
; VGPRBlocks: 5
; NumSGPRsForWavesPerEU: 50
; NumVGPRsForWavesPerEU: 44
; AccumOffset: 44
; Occupancy: 8
; WaveLimiterHint : 0
; COMPUTE_PGM_RSRC2:SCRATCH_EN: 0
; COMPUTE_PGM_RSRC2:USER_SGPR: 2
; COMPUTE_PGM_RSRC2:TRAP_HANDLER: 0
; COMPUTE_PGM_RSRC2:TGID_X_EN: 1
; COMPUTE_PGM_RSRC2:TGID_Y_EN: 1
; COMPUTE_PGM_RSRC2:TGID_Z_EN: 1
; COMPUTE_PGM_RSRC2:TIDIG_COMP_CNT: 0
; COMPUTE_PGM_RSRC3_GFX90A:ACCUM_OFFSET: 10
; COMPUTE_PGM_RSRC3_GFX90A:TG_SPLIT: 0
	.section	.text._ZN9rocsparse31csrmmnn_row_split_shared_kernelILj256ELj8EiiiaaiEEvNS_24const_host_device_scalarIT1_EES3_bbbT3_S4_llPKT2_PKS4_PKT4_PKT5_llPT6_ll16rocsparse_order_21rocsparse_index_base_,"axG",@progbits,_ZN9rocsparse31csrmmnn_row_split_shared_kernelILj256ELj8EiiiaaiEEvNS_24const_host_device_scalarIT1_EES3_bbbT3_S4_llPKT2_PKS4_PKT4_PKT5_llPT6_ll16rocsparse_order_21rocsparse_index_base_,comdat
	.protected	_ZN9rocsparse31csrmmnn_row_split_shared_kernelILj256ELj8EiiiaaiEEvNS_24const_host_device_scalarIT1_EES3_bbbT3_S4_llPKT2_PKS4_PKT4_PKT5_llPT6_ll16rocsparse_order_21rocsparse_index_base_ ; -- Begin function _ZN9rocsparse31csrmmnn_row_split_shared_kernelILj256ELj8EiiiaaiEEvNS_24const_host_device_scalarIT1_EES3_bbbT3_S4_llPKT2_PKS4_PKT4_PKT5_llPT6_ll16rocsparse_order_21rocsparse_index_base_
	.globl	_ZN9rocsparse31csrmmnn_row_split_shared_kernelILj256ELj8EiiiaaiEEvNS_24const_host_device_scalarIT1_EES3_bbbT3_S4_llPKT2_PKS4_PKT4_PKT5_llPT6_ll16rocsparse_order_21rocsparse_index_base_
	.p2align	8
	.type	_ZN9rocsparse31csrmmnn_row_split_shared_kernelILj256ELj8EiiiaaiEEvNS_24const_host_device_scalarIT1_EES3_bbbT3_S4_llPKT2_PKS4_PKT4_PKT5_llPT6_ll16rocsparse_order_21rocsparse_index_base_,@function
_ZN9rocsparse31csrmmnn_row_split_shared_kernelILj256ELj8EiiiaaiEEvNS_24const_host_device_scalarIT1_EES3_bbbT3_S4_llPKT2_PKS4_PKT4_PKT5_llPT6_ll16rocsparse_order_21rocsparse_index_base_: ; @_ZN9rocsparse31csrmmnn_row_split_shared_kernelILj256ELj8EiiiaaiEEvNS_24const_host_device_scalarIT1_EES3_bbbT3_S4_llPKT2_PKS4_PKT4_PKT5_llPT6_ll16rocsparse_order_21rocsparse_index_base_
; %bb.0:
	s_load_dwordx8 s[20:27], s[0:1], 0x0
	s_mov_b64 s[8:9], -1
                                        ; implicit-def: $sgpr5
	s_waitcnt lgkmcnt(0)
	s_bitcmp1_b32 s24, 0
	s_cselect_b64 s[6:7], -1, 0
	s_xor_b64 s[6:7], s[6:7], -1
	s_and_b64 vcc, exec, s[6:7]
	s_cbranch_vccnz .LBB15_4
; %bb.1:
	s_andn2_b64 vcc, exec, s[8:9]
	s_cbranch_vccz .LBB15_5
.LBB15_2:
	s_and_b64 vcc, exec, s[6:7]
	s_cbranch_vccz .LBB15_6
.LBB15_3:
	s_load_dword s24, s[22:23], 0x0
	s_cbranch_execz .LBB15_7
	s_branch .LBB15_8
.LBB15_4:
	s_load_dword s5, s[20:21], 0x0
	s_cbranch_execnz .LBB15_2
.LBB15_5:
	s_waitcnt lgkmcnt(0)
	s_mov_b32 s5, s20
	s_and_b64 vcc, exec, s[6:7]
	s_cbranch_vccnz .LBB15_3
.LBB15_6:
                                        ; implicit-def: $sgpr24
.LBB15_7:
	s_waitcnt lgkmcnt(0)
	s_mov_b32 s24, s22
.LBB15_8:
	s_waitcnt lgkmcnt(0)
	s_cmp_eq_u32 s5, 0
	s_cselect_b64 s[6:7], -1, 0
	s_cmp_eq_u32 s24, 1
	s_cselect_b64 s[8:9], -1, 0
	s_and_b64 s[6:7], s[6:7], s[8:9]
	s_and_b64 vcc, exec, s[6:7]
	s_cbranch_vccnz .LBB15_25
; %bb.9:
	v_lshl_or_b32 v1, s2, 8, v0
	v_lshrrev_b32_e32 v8, 3, v1
	v_cmp_gt_i32_e32 vcc, s25, v8
	s_and_saveexec_b64 s[6:7], vcc
	s_cbranch_execz .LBB15_25
; %bb.10:
	s_load_dwordx16 s[8:23], s[0:1], 0x20
	s_ashr_i32 s25, s4, 31
	v_lshlrev_b32_e32 v2, 2, v8
	v_and_b32_e32 v3, 7, v0
	v_lshl_or_b32 v4, s3, 3, v3
	s_waitcnt lgkmcnt(0)
	s_mul_hi_u32 s2, s8, s4
	s_mul_i32 s7, s8, s25
	s_mul_i32 s9, s9, s4
	s_add_i32 s2, s2, s7
	s_mul_i32 s6, s8, s4
	s_add_i32 s7, s2, s9
	s_lshl_b64 s[6:7], s[6:7], 2
	s_add_u32 s6, s12, s6
	s_addc_u32 s7, s13, s7
	global_load_dwordx2 v[6:7], v2, s[6:7]
	s_load_dwordx2 s[6:7], s[0:1], 0x78
	v_ashrrev_i32_e32 v5, 31, v4
	v_mov_b32_e32 v12, 0
	s_waitcnt vmcnt(0)
	v_cmp_lt_i32_e32 vcc, v6, v7
	s_and_saveexec_b64 s[8:9], vcc
	s_cbranch_execz .LBB15_18
; %bb.11:
	v_lshlrev_b32_e32 v0, 2, v0
	v_and_b32_e32 v11, 0x3e0, v0
	s_mul_i32 s2, s10, s25
	s_mul_hi_u32 s3, s10, s4
	v_mov_b32_e32 v16, s18
	v_mov_b32_e32 v17, s19
	v_lshlrev_b32_e32 v0, 2, v3
	v_or_b32_e32 v14, 0x400, v11
	s_add_i32 s2, s3, s2
	s_mul_i32 s3, s11, s4
	s_waitcnt lgkmcnt(0)
	v_subrev_u32_e32 v9, s7, v7
	v_subrev_u32_e32 v10, s7, v6
	v_or_b32_e32 v13, v11, v0
	v_or_b32_e32 v15, v14, v0
	s_add_i32 s11, s2, s3
	v_mul_lo_u32 v6, s20, v5
	v_mul_lo_u32 v7, s21, v4
	v_mad_u64_u32 v[0:1], s[2:3], s20, v4, v[16:17]
	v_add3_u32 v1, v7, v1, v6
	v_mov_b32_e32 v6, s4
	v_mad_u64_u32 v[0:1], s[2:3], s22, v6, v[0:1]
	s_mul_i32 s2, s23, s4
	s_mul_i32 s3, s22, s25
	s_add_i32 s3, s3, s2
	s_mul_i32 s10, s10, s4
	v_cmp_gt_i32_e32 vcc, s26, v4
	v_add_u32_e32 v1, s3, v1
	v_mov_b32_e32 v12, 0
	s_mov_b64 s[12:13], 0
	s_branch .LBB15_13
.LBB15_12:                              ;   in Loop: Header=BB15_13 Depth=1
	s_or_b64 exec, exec, s[2:3]
	v_add_u32_e32 v10, 8, v10
	v_cmp_ge_i32_e64 s[2:3], v10, v9
	s_or_b64 s[12:13], s[2:3], s[12:13]
	s_andn2_b64 exec, exec, s[12:13]
	s_cbranch_execz .LBB15_17
.LBB15_13:                              ; =>This Inner Loop Header: Depth=1
	v_add_u32_e32 v6, v3, v10
	v_cmp_lt_i32_e64 s[2:3], v6, v9
	v_mov_b32_e32 v7, 0
	v_mov_b32_e32 v16, 0
	s_barrier
	s_and_saveexec_b64 s[18:19], s[2:3]
	s_cbranch_execz .LBB15_15
; %bb.14:                               ;   in Loop: Header=BB15_13 Depth=1
	v_ashrrev_i32_e32 v7, 31, v6
	v_lshl_add_u64 v[6:7], s[10:11], 0, v[6:7]
	v_lshl_add_u64 v[16:17], v[6:7], 2, s[14:15]
	global_load_dword v17, v[16:17], off
	v_lshl_add_u64 v[6:7], s[16:17], 0, v[6:7]
	global_load_sbyte v16, v[6:7], off
	s_waitcnt vmcnt(1)
	v_subrev_u32_e32 v7, s7, v17
.LBB15_15:                              ;   in Loop: Header=BB15_13 Depth=1
	s_or_b64 exec, exec, s[18:19]
	ds_write_b32 v13, v7
	s_waitcnt vmcnt(0)
	ds_write_b32 v15, v16
	s_waitcnt lgkmcnt(0)
	s_barrier
	s_and_saveexec_b64 s[2:3], vcc
	s_cbranch_execz .LBB15_12
; %bb.16:                               ;   in Loop: Header=BB15_13 Depth=1
	ds_read_b128 v[16:19], v11
	ds_read_b128 v[20:23], v11 offset:16
	s_waitcnt lgkmcnt(1)
	v_ashrrev_i32_e32 v7, 31, v16
	v_mov_b32_e32 v6, v16
	v_ashrrev_i32_e32 v25, 31, v17
	v_mov_b32_e32 v24, v17
	;; [unrolled: 2-line block ×3, first 2 shown]
	s_waitcnt lgkmcnt(0)
	v_ashrrev_i32_e32 v29, 31, v21
	v_mov_b32_e32 v28, v21
	v_lshl_add_u64 v[6:7], v[0:1], 0, v[6:7]
	v_lshl_add_u64 v[16:17], v[0:1], 0, v[24:25]
	v_ashrrev_i32_e32 v25, 31, v18
	v_mov_b32_e32 v24, v18
	v_lshl_add_u64 v[18:19], v[0:1], 0, v[26:27]
	v_ashrrev_i32_e32 v27, 31, v20
	v_mov_b32_e32 v26, v20
	;; [unrolled: 3-line block ×3, first 2 shown]
	v_lshl_add_u64 v[24:25], v[0:1], 0, v[24:25]
	v_lshl_add_u64 v[26:27], v[0:1], 0, v[26:27]
	;; [unrolled: 1-line block ×3, first 2 shown]
	global_load_sbyte v30, v[6:7], off
	global_load_sbyte v31, v[16:17], off
	;; [unrolled: 1-line block ×7, first 2 shown]
	v_ashrrev_i32_e32 v7, 31, v23
	v_mov_b32_e32 v6, v23
	v_lshl_add_u64 v[6:7], v[0:1], 0, v[6:7]
	global_load_sbyte v6, v[6:7], off
	ds_read_b128 v[16:19], v14
	ds_read_b128 v[20:23], v14 offset:16
	s_waitcnt vmcnt(7) lgkmcnt(1)
	v_mul_lo_u32 v7, v16, v30
	s_waitcnt vmcnt(6)
	v_mul_lo_u32 v16, v17, v31
	s_waitcnt vmcnt(5)
	;; [unrolled: 2-line block ×3, first 2 shown]
	v_mul_lo_u32 v18, v19, v33
	v_add3_u32 v7, v7, v12, v16
	s_waitcnt vmcnt(3) lgkmcnt(0)
	v_mul_lo_u32 v19, v20, v34
	s_waitcnt vmcnt(2)
	v_mul_lo_u32 v20, v21, v35
	v_add3_u32 v7, v7, v17, v18
	s_waitcnt vmcnt(1)
	v_mul_lo_u32 v21, v22, v36
	v_add3_u32 v7, v7, v19, v20
	;; [unrolled: 3-line block ×3, first 2 shown]
	s_branch .LBB15_12
.LBB15_17:
	s_or_b64 exec, exec, s[12:13]
.LBB15_18:
	s_or_b64 exec, exec, s[8:9]
	v_cmp_gt_i32_e32 vcc, s26, v4
	s_and_b64 exec, exec, vcc
	s_cbranch_execz .LBB15_25
; %bb.19:
	s_load_dwordx4 s[8:11], s[0:1], 0x60
	s_load_dwordx2 s[14:15], s[0:1], 0x70
	s_waitcnt lgkmcnt(0)
	s_cmp_lg_u32 s6, 1
	s_cselect_b64 s[2:3], -1, 0
	s_cmp_lg_u32 s24, 0
	v_mul_lo_u32 v0, v12, s5
	s_mul_i32 s6, s14, s25
	s_mul_hi_u32 s7, s14, s4
	s_mul_i32 s12, s15, s4
	s_mul_i32 s0, s14, s4
	s_cbranch_scc0 .LBB15_26
; %bb.20:
	s_add_i32 s1, s7, s6
	s_add_i32 s1, s1, s12
	s_mov_b64 s[4:5], -1
	s_and_b64 vcc, exec, s[2:3]
	s_cbranch_vccz .LBB15_22
; %bb.21:
	v_mad_u64_u32 v[6:7], s[4:5], s10, v8, 0
	v_mov_b32_e32 v10, v7
	v_mad_u64_u32 v[10:11], s[4:5], s11, v8, v[10:11]
	v_mov_b32_e32 v7, v10
	v_lshl_add_u64 v[6:7], v[6:7], 2, s[8:9]
	v_lshl_add_u64 v[6:7], v[4:5], 2, v[6:7]
	;; [unrolled: 1-line block ×3, first 2 shown]
	global_load_dword v1, v[6:7], off
	s_waitcnt vmcnt(0)
	v_mad_u64_u32 v[10:11], s[4:5], v1, s24, v[0:1]
	global_store_dword v[6:7], v10, off
	s_mov_b64 s[4:5], 0
.LBB15_22:
	s_andn2_b64 vcc, exec, s[4:5]
	s_cbranch_vccnz .LBB15_24
; %bb.23:
	v_mul_lo_u32 v1, s11, v4
	v_mul_lo_u32 v3, s10, v5
	v_mad_u64_u32 v[6:7], s[4:5], s10, v4, 0
	v_add3_u32 v7, v7, v3, v1
	v_lshl_add_u64 v[6:7], v[6:7], 2, s[8:9]
	v_mov_b32_e32 v3, 0
	v_lshl_add_u64 v[6:7], v[6:7], 0, v[2:3]
	v_lshl_add_u64 v[6:7], s[0:1], 2, v[6:7]
	global_load_dword v1, v[6:7], off
	s_waitcnt vmcnt(0)
	v_mad_u64_u32 v[10:11], s[4:5], v1, s24, v[0:1]
	global_store_dword v[6:7], v10, off
.LBB15_24:
	s_cbranch_execz .LBB15_27
.LBB15_25:
	s_endpgm
.LBB15_26:
.LBB15_27:
	s_add_i32 s1, s7, s6
	s_add_i32 s1, s1, s12
	s_mov_b64 s[4:5], -1
	s_and_b64 vcc, exec, s[2:3]
	s_cbranch_vccz .LBB15_29
; %bb.28:
	v_mad_u64_u32 v[6:7], s[2:3], s10, v8, 0
	v_mov_b32_e32 v10, v7
	v_mad_u64_u32 v[8:9], s[2:3], s11, v8, v[10:11]
	v_mov_b32_e32 v7, v8
	v_lshl_add_u64 v[6:7], v[6:7], 2, s[8:9]
	v_lshl_add_u64 v[6:7], v[4:5], 2, v[6:7]
	v_lshl_add_u64 v[6:7], s[0:1], 2, v[6:7]
	global_store_dword v[6:7], v0, off
	s_mov_b64 s[4:5], 0
.LBB15_29:
	s_andn2_b64 vcc, exec, s[4:5]
	s_cbranch_vccnz .LBB15_25
; %bb.30:
	v_mul_lo_u32 v1, s11, v4
	v_mul_lo_u32 v3, s10, v5
	v_mad_u64_u32 v[4:5], s[2:3], s10, v4, 0
	v_add3_u32 v5, v5, v3, v1
	v_lshl_add_u64 v[4:5], v[4:5], 2, s[8:9]
	v_mov_b32_e32 v3, 0
	v_lshl_add_u64 v[2:3], v[4:5], 0, v[2:3]
	v_lshl_add_u64 v[2:3], s[0:1], 2, v[2:3]
	global_store_dword v[2:3], v0, off
	s_endpgm
	.section	.rodata,"a",@progbits
	.p2align	6, 0x0
	.amdhsa_kernel _ZN9rocsparse31csrmmnn_row_split_shared_kernelILj256ELj8EiiiaaiEEvNS_24const_host_device_scalarIT1_EES3_bbbT3_S4_llPKT2_PKS4_PKT4_PKT5_llPT6_ll16rocsparse_order_21rocsparse_index_base_
		.amdhsa_group_segment_fixed_size 2048
		.amdhsa_private_segment_fixed_size 0
		.amdhsa_kernarg_size 128
		.amdhsa_user_sgpr_count 2
		.amdhsa_user_sgpr_dispatch_ptr 0
		.amdhsa_user_sgpr_queue_ptr 0
		.amdhsa_user_sgpr_kernarg_segment_ptr 1
		.amdhsa_user_sgpr_dispatch_id 0
		.amdhsa_user_sgpr_kernarg_preload_length 0
		.amdhsa_user_sgpr_kernarg_preload_offset 0
		.amdhsa_user_sgpr_private_segment_size 0
		.amdhsa_uses_dynamic_stack 0
		.amdhsa_enable_private_segment 0
		.amdhsa_system_sgpr_workgroup_id_x 1
		.amdhsa_system_sgpr_workgroup_id_y 1
		.amdhsa_system_sgpr_workgroup_id_z 1
		.amdhsa_system_sgpr_workgroup_info 0
		.amdhsa_system_vgpr_workitem_id 0
		.amdhsa_next_free_vgpr 37
		.amdhsa_next_free_sgpr 28
		.amdhsa_accum_offset 40
		.amdhsa_reserve_vcc 1
		.amdhsa_float_round_mode_32 0
		.amdhsa_float_round_mode_16_64 0
		.amdhsa_float_denorm_mode_32 3
		.amdhsa_float_denorm_mode_16_64 3
		.amdhsa_dx10_clamp 1
		.amdhsa_ieee_mode 1
		.amdhsa_fp16_overflow 0
		.amdhsa_tg_split 0
		.amdhsa_exception_fp_ieee_invalid_op 0
		.amdhsa_exception_fp_denorm_src 0
		.amdhsa_exception_fp_ieee_div_zero 0
		.amdhsa_exception_fp_ieee_overflow 0
		.amdhsa_exception_fp_ieee_underflow 0
		.amdhsa_exception_fp_ieee_inexact 0
		.amdhsa_exception_int_div_zero 0
	.end_amdhsa_kernel
	.section	.text._ZN9rocsparse31csrmmnn_row_split_shared_kernelILj256ELj8EiiiaaiEEvNS_24const_host_device_scalarIT1_EES3_bbbT3_S4_llPKT2_PKS4_PKT4_PKT5_llPT6_ll16rocsparse_order_21rocsparse_index_base_,"axG",@progbits,_ZN9rocsparse31csrmmnn_row_split_shared_kernelILj256ELj8EiiiaaiEEvNS_24const_host_device_scalarIT1_EES3_bbbT3_S4_llPKT2_PKS4_PKT4_PKT5_llPT6_ll16rocsparse_order_21rocsparse_index_base_,comdat
.Lfunc_end15:
	.size	_ZN9rocsparse31csrmmnn_row_split_shared_kernelILj256ELj8EiiiaaiEEvNS_24const_host_device_scalarIT1_EES3_bbbT3_S4_llPKT2_PKS4_PKT4_PKT5_llPT6_ll16rocsparse_order_21rocsparse_index_base_, .Lfunc_end15-_ZN9rocsparse31csrmmnn_row_split_shared_kernelILj256ELj8EiiiaaiEEvNS_24const_host_device_scalarIT1_EES3_bbbT3_S4_llPKT2_PKS4_PKT4_PKT5_llPT6_ll16rocsparse_order_21rocsparse_index_base_
                                        ; -- End function
	.set _ZN9rocsparse31csrmmnn_row_split_shared_kernelILj256ELj8EiiiaaiEEvNS_24const_host_device_scalarIT1_EES3_bbbT3_S4_llPKT2_PKS4_PKT4_PKT5_llPT6_ll16rocsparse_order_21rocsparse_index_base_.num_vgpr, 37
	.set _ZN9rocsparse31csrmmnn_row_split_shared_kernelILj256ELj8EiiiaaiEEvNS_24const_host_device_scalarIT1_EES3_bbbT3_S4_llPKT2_PKS4_PKT4_PKT5_llPT6_ll16rocsparse_order_21rocsparse_index_base_.num_agpr, 0
	.set _ZN9rocsparse31csrmmnn_row_split_shared_kernelILj256ELj8EiiiaaiEEvNS_24const_host_device_scalarIT1_EES3_bbbT3_S4_llPKT2_PKS4_PKT4_PKT5_llPT6_ll16rocsparse_order_21rocsparse_index_base_.numbered_sgpr, 28
	.set _ZN9rocsparse31csrmmnn_row_split_shared_kernelILj256ELj8EiiiaaiEEvNS_24const_host_device_scalarIT1_EES3_bbbT3_S4_llPKT2_PKS4_PKT4_PKT5_llPT6_ll16rocsparse_order_21rocsparse_index_base_.num_named_barrier, 0
	.set _ZN9rocsparse31csrmmnn_row_split_shared_kernelILj256ELj8EiiiaaiEEvNS_24const_host_device_scalarIT1_EES3_bbbT3_S4_llPKT2_PKS4_PKT4_PKT5_llPT6_ll16rocsparse_order_21rocsparse_index_base_.private_seg_size, 0
	.set _ZN9rocsparse31csrmmnn_row_split_shared_kernelILj256ELj8EiiiaaiEEvNS_24const_host_device_scalarIT1_EES3_bbbT3_S4_llPKT2_PKS4_PKT4_PKT5_llPT6_ll16rocsparse_order_21rocsparse_index_base_.uses_vcc, 1
	.set _ZN9rocsparse31csrmmnn_row_split_shared_kernelILj256ELj8EiiiaaiEEvNS_24const_host_device_scalarIT1_EES3_bbbT3_S4_llPKT2_PKS4_PKT4_PKT5_llPT6_ll16rocsparse_order_21rocsparse_index_base_.uses_flat_scratch, 0
	.set _ZN9rocsparse31csrmmnn_row_split_shared_kernelILj256ELj8EiiiaaiEEvNS_24const_host_device_scalarIT1_EES3_bbbT3_S4_llPKT2_PKS4_PKT4_PKT5_llPT6_ll16rocsparse_order_21rocsparse_index_base_.has_dyn_sized_stack, 0
	.set _ZN9rocsparse31csrmmnn_row_split_shared_kernelILj256ELj8EiiiaaiEEvNS_24const_host_device_scalarIT1_EES3_bbbT3_S4_llPKT2_PKS4_PKT4_PKT5_llPT6_ll16rocsparse_order_21rocsparse_index_base_.has_recursion, 0
	.set _ZN9rocsparse31csrmmnn_row_split_shared_kernelILj256ELj8EiiiaaiEEvNS_24const_host_device_scalarIT1_EES3_bbbT3_S4_llPKT2_PKS4_PKT4_PKT5_llPT6_ll16rocsparse_order_21rocsparse_index_base_.has_indirect_call, 0
	.section	.AMDGPU.csdata,"",@progbits
; Kernel info:
; codeLenInByte = 1380
; TotalNumSgprs: 34
; NumVgprs: 37
; NumAgprs: 0
; TotalNumVgprs: 37
; ScratchSize: 0
; MemoryBound: 0
; FloatMode: 240
; IeeeMode: 1
; LDSByteSize: 2048 bytes/workgroup (compile time only)
; SGPRBlocks: 4
; VGPRBlocks: 4
; NumSGPRsForWavesPerEU: 34
; NumVGPRsForWavesPerEU: 37
; AccumOffset: 40
; Occupancy: 8
; WaveLimiterHint : 1
; COMPUTE_PGM_RSRC2:SCRATCH_EN: 0
; COMPUTE_PGM_RSRC2:USER_SGPR: 2
; COMPUTE_PGM_RSRC2:TRAP_HANDLER: 0
; COMPUTE_PGM_RSRC2:TGID_X_EN: 1
; COMPUTE_PGM_RSRC2:TGID_Y_EN: 1
; COMPUTE_PGM_RSRC2:TGID_Z_EN: 1
; COMPUTE_PGM_RSRC2:TIDIG_COMP_CNT: 0
; COMPUTE_PGM_RSRC3_GFX90A:ACCUM_OFFSET: 9
; COMPUTE_PGM_RSRC3_GFX90A:TG_SPLIT: 0
	.section	.text._ZN9rocsparse31csrmmnn_row_split_shared_kernelILj256ELj8EiliaaiEEvNS_24const_host_device_scalarIT1_EES3_bbbT3_S4_llPKT2_PKS4_PKT4_PKT5_llPT6_ll16rocsparse_order_21rocsparse_index_base_,"axG",@progbits,_ZN9rocsparse31csrmmnn_row_split_shared_kernelILj256ELj8EiliaaiEEvNS_24const_host_device_scalarIT1_EES3_bbbT3_S4_llPKT2_PKS4_PKT4_PKT5_llPT6_ll16rocsparse_order_21rocsparse_index_base_,comdat
	.protected	_ZN9rocsparse31csrmmnn_row_split_shared_kernelILj256ELj8EiliaaiEEvNS_24const_host_device_scalarIT1_EES3_bbbT3_S4_llPKT2_PKS4_PKT4_PKT5_llPT6_ll16rocsparse_order_21rocsparse_index_base_ ; -- Begin function _ZN9rocsparse31csrmmnn_row_split_shared_kernelILj256ELj8EiliaaiEEvNS_24const_host_device_scalarIT1_EES3_bbbT3_S4_llPKT2_PKS4_PKT4_PKT5_llPT6_ll16rocsparse_order_21rocsparse_index_base_
	.globl	_ZN9rocsparse31csrmmnn_row_split_shared_kernelILj256ELj8EiliaaiEEvNS_24const_host_device_scalarIT1_EES3_bbbT3_S4_llPKT2_PKS4_PKT4_PKT5_llPT6_ll16rocsparse_order_21rocsparse_index_base_
	.p2align	8
	.type	_ZN9rocsparse31csrmmnn_row_split_shared_kernelILj256ELj8EiliaaiEEvNS_24const_host_device_scalarIT1_EES3_bbbT3_S4_llPKT2_PKS4_PKT4_PKT5_llPT6_ll16rocsparse_order_21rocsparse_index_base_,@function
_ZN9rocsparse31csrmmnn_row_split_shared_kernelILj256ELj8EiliaaiEEvNS_24const_host_device_scalarIT1_EES3_bbbT3_S4_llPKT2_PKS4_PKT4_PKT5_llPT6_ll16rocsparse_order_21rocsparse_index_base_: ; @_ZN9rocsparse31csrmmnn_row_split_shared_kernelILj256ELj8EiliaaiEEvNS_24const_host_device_scalarIT1_EES3_bbbT3_S4_llPKT2_PKS4_PKT4_PKT5_llPT6_ll16rocsparse_order_21rocsparse_index_base_
; %bb.0:
	s_load_dwordx8 s[20:27], s[0:1], 0x0
	s_mov_b64 s[8:9], -1
                                        ; implicit-def: $sgpr5
	s_waitcnt lgkmcnt(0)
	s_bitcmp1_b32 s24, 0
	s_cselect_b64 s[6:7], -1, 0
	s_xor_b64 s[6:7], s[6:7], -1
	s_and_b64 vcc, exec, s[6:7]
	s_cbranch_vccnz .LBB16_4
; %bb.1:
	s_andn2_b64 vcc, exec, s[8:9]
	s_cbranch_vccz .LBB16_5
.LBB16_2:
	s_and_b64 vcc, exec, s[6:7]
	s_cbranch_vccz .LBB16_6
.LBB16_3:
	s_load_dword s24, s[22:23], 0x0
	s_cbranch_execz .LBB16_7
	s_branch .LBB16_8
.LBB16_4:
	s_load_dword s5, s[20:21], 0x0
	s_cbranch_execnz .LBB16_2
.LBB16_5:
	s_waitcnt lgkmcnt(0)
	s_mov_b32 s5, s20
	s_and_b64 vcc, exec, s[6:7]
	s_cbranch_vccnz .LBB16_3
.LBB16_6:
                                        ; implicit-def: $sgpr24
.LBB16_7:
	s_waitcnt lgkmcnt(0)
	s_mov_b32 s24, s22
.LBB16_8:
	s_waitcnt lgkmcnt(0)
	s_cmp_eq_u32 s5, 0
	s_cselect_b64 s[6:7], -1, 0
	s_cmp_eq_u32 s24, 1
	s_cselect_b64 s[8:9], -1, 0
	s_and_b64 s[6:7], s[6:7], s[8:9]
	s_and_b64 vcc, exec, s[6:7]
	s_cbranch_vccnz .LBB16_25
; %bb.9:
	v_lshl_or_b32 v1, s2, 8, v0
	v_lshrrev_b32_e32 v14, 3, v1
	v_cmp_gt_i32_e32 vcc, s25, v14
	s_and_saveexec_b64 s[6:7], vcc
	s_cbranch_execz .LBB16_25
; %bb.10:
	s_load_dwordx16 s[8:23], s[0:1], 0x20
	s_ashr_i32 s25, s4, 31
	v_lshlrev_b32_e32 v1, 3, v14
	v_and_b32_e32 v8, 7, v0
	v_lshl_or_b32 v6, s3, 3, v8
	s_waitcnt lgkmcnt(0)
	s_mul_hi_u32 s2, s8, s4
	s_mul_i32 s7, s8, s25
	s_mul_i32 s9, s9, s4
	s_add_i32 s2, s2, s7
	s_mul_i32 s6, s8, s4
	s_add_i32 s7, s2, s9
	s_lshl_b64 s[6:7], s[6:7], 3
	s_add_u32 s6, s12, s6
	s_addc_u32 s7, s13, s7
	global_load_dwordx4 v[2:5], v1, s[6:7]
	s_load_dwordx2 s[6:7], s[0:1], 0x78
	v_ashrrev_i32_e32 v7, 31, v6
	v_mov_b32_e32 v19, 0
	s_waitcnt vmcnt(0)
	v_cmp_lt_i64_e32 vcc, v[2:3], v[4:5]
	s_and_saveexec_b64 s[8:9], vcc
	s_cbranch_execz .LBB16_18
; %bb.11:
	v_lshlrev_b32_e32 v0, 2, v0
	v_and_b32_e32 v15, 0x3e0, v0
	s_mul_i32 s3, s11, s4
	s_mul_i32 s11, s10, s25
	v_mov_b32_e32 v20, s18
	v_mov_b32_e32 v21, s19
	v_lshlrev_b32_e32 v0, 2, v8
	v_or_b32_e32 v17, 0x400, v15
	s_mul_hi_u32 s2, s10, s4
	s_add_i32 s11, s11, s3
	v_or_b32_e32 v16, v15, v0
	v_or_b32_e32 v18, v17, v0
	s_add_i32 s12, s11, s2
	v_mul_lo_u32 v19, s20, v7
	v_mul_lo_u32 v22, s21, v6
	v_mad_u64_u32 v[0:1], s[2:3], s20, v6, v[20:21]
	v_add3_u32 v1, v22, v1, v19
	v_mov_b32_e32 v19, s4
	s_waitcnt lgkmcnt(0)
	v_subrev_co_u32_e32 v4, vcc, s7, v4
	v_mad_u64_u32 v[0:1], s[2:3], s22, v19, v[0:1]
	s_nop 0
	v_subbrev_co_u32_e32 v5, vcc, 0, v5, vcc
	s_mul_i32 s2, s23, s4
	s_mul_i32 s3, s22, s25
	v_subrev_co_u32_e32 v10, vcc, s7, v2
	s_add_i32 s3, s3, s2
	s_nop 0
	v_subbrev_co_u32_e32 v11, vcc, 0, v3, vcc
	v_add_u32_e32 v1, s3, v1
	v_mad_u64_u32 v[2:3], s[2:3], s10, v19, v[2:3]
	v_mov_b32_e32 v9, 0
	v_add_u32_e32 v3, s11, v3
	v_lshl_add_u64 v[2:3], v[2:3], 0, v[8:9]
	v_subrev_co_u32_e64 v2, s[2:3], s7, v2
	s_mul_i32 s13, s10, s4
	s_nop 0
	v_subbrev_co_u32_e64 v3, s[2:3], 0, v3, s[2:3]
	s_add_u32 s2, s16, s13
	v_mov_b32_e32 v12, s14
	v_mov_b32_e32 v13, s15
	s_addc_u32 s3, s17, s12
	v_cmp_gt_i32_e32 vcc, s26, v6
	v_lshl_add_u64 v[2:3], v[2:3], 2, v[12:13]
	v_lshl_add_u64 v[12:13], s[2:3], 0, v[8:9]
	s_mov_b64 s[10:11], 0
	v_mov_b32_e32 v19, v9
	s_branch .LBB16_13
.LBB16_12:                              ;   in Loop: Header=BB16_13 Depth=1
	s_or_b64 exec, exec, s[2:3]
	v_lshl_add_u64 v[10:11], v[10:11], 0, 8
	v_cmp_ge_i64_e64 s[2:3], v[10:11], v[4:5]
	s_or_b64 s[10:11], s[2:3], s[10:11]
	v_lshl_add_u64 v[2:3], v[2:3], 0, 32
	s_andn2_b64 exec, exec, s[10:11]
	s_cbranch_execz .LBB16_17
.LBB16_13:                              ; =>This Inner Loop Header: Depth=1
	v_lshl_add_u64 v[20:21], v[8:9], 0, v[10:11]
	v_cmp_lt_i64_e64 s[2:3], v[20:21], v[4:5]
	v_mov_b32_e32 v20, 0
	v_mov_b32_e32 v21, 0
	s_barrier
	s_and_saveexec_b64 s[12:13], s[2:3]
	s_cbranch_execz .LBB16_15
; %bb.14:                               ;   in Loop: Header=BB16_13 Depth=1
	global_load_dword v22, v[2:3], off
	v_lshl_add_u64 v[20:21], v[12:13], 0, v[10:11]
	global_load_sbyte v21, v[20:21], off
	s_waitcnt vmcnt(1)
	v_subrev_u32_e32 v20, s7, v22
.LBB16_15:                              ;   in Loop: Header=BB16_13 Depth=1
	s_or_b64 exec, exec, s[12:13]
	ds_write_b32 v16, v20
	s_waitcnt vmcnt(0)
	ds_write_b32 v18, v21
	s_waitcnt lgkmcnt(0)
	s_barrier
	s_and_saveexec_b64 s[2:3], vcc
	s_cbranch_execz .LBB16_12
; %bb.16:                               ;   in Loop: Header=BB16_13 Depth=1
	ds_read_b128 v[20:23], v15
	ds_read_b128 v[24:27], v15 offset:16
	s_waitcnt lgkmcnt(1)
	v_ashrrev_i32_e32 v29, 31, v20
	v_mov_b32_e32 v28, v20
	v_ashrrev_i32_e32 v31, 31, v21
	v_mov_b32_e32 v30, v21
	;; [unrolled: 2-line block ×3, first 2 shown]
	s_waitcnt lgkmcnt(0)
	v_ashrrev_i32_e32 v35, 31, v25
	v_mov_b32_e32 v34, v25
	v_lshl_add_u64 v[20:21], v[0:1], 0, v[28:29]
	v_lshl_add_u64 v[28:29], v[0:1], 0, v[30:31]
	v_ashrrev_i32_e32 v31, 31, v22
	v_mov_b32_e32 v30, v22
	v_lshl_add_u64 v[22:23], v[0:1], 0, v[32:33]
	v_ashrrev_i32_e32 v33, 31, v24
	v_mov_b32_e32 v32, v24
	;; [unrolled: 3-line block ×3, first 2 shown]
	v_lshl_add_u64 v[30:31], v[0:1], 0, v[30:31]
	v_lshl_add_u64 v[32:33], v[0:1], 0, v[32:33]
	;; [unrolled: 1-line block ×3, first 2 shown]
	global_load_sbyte v36, v[20:21], off
	global_load_sbyte v37, v[28:29], off
	;; [unrolled: 1-line block ×7, first 2 shown]
	v_ashrrev_i32_e32 v21, 31, v27
	v_mov_b32_e32 v20, v27
	v_lshl_add_u64 v[20:21], v[0:1], 0, v[20:21]
	global_load_sbyte v28, v[20:21], off
	ds_read_b128 v[20:23], v17
	ds_read_b128 v[24:27], v17 offset:16
	s_waitcnt vmcnt(7) lgkmcnt(1)
	v_mul_lo_u32 v20, v20, v36
	s_waitcnt vmcnt(6)
	v_mul_lo_u32 v21, v21, v37
	s_waitcnt vmcnt(5)
	;; [unrolled: 2-line block ×3, first 2 shown]
	v_mul_lo_u32 v23, v23, v39
	v_add3_u32 v19, v20, v19, v21
	s_waitcnt vmcnt(3) lgkmcnt(0)
	v_mul_lo_u32 v24, v24, v40
	s_waitcnt vmcnt(2)
	v_mul_lo_u32 v25, v25, v41
	v_add3_u32 v19, v19, v22, v23
	s_waitcnt vmcnt(1)
	v_mul_lo_u32 v26, v26, v42
	v_add3_u32 v19, v19, v24, v25
	;; [unrolled: 3-line block ×3, first 2 shown]
	s_branch .LBB16_12
.LBB16_17:
	s_or_b64 exec, exec, s[10:11]
.LBB16_18:
	s_or_b64 exec, exec, s[8:9]
	v_cmp_gt_i32_e32 vcc, s26, v6
	s_and_b64 exec, exec, vcc
	s_cbranch_execz .LBB16_25
; %bb.19:
	s_load_dwordx4 s[8:11], s[0:1], 0x60
	s_load_dwordx2 s[14:15], s[0:1], 0x70
	s_waitcnt lgkmcnt(0)
	s_cmp_lg_u32 s6, 1
	s_cselect_b64 s[2:3], -1, 0
	s_cmp_lg_u32 s24, 0
	v_mul_lo_u32 v0, v19, s5
	s_mul_i32 s6, s14, s25
	s_mul_hi_u32 s7, s14, s4
	s_mul_i32 s12, s15, s4
	s_mul_i32 s0, s14, s4
	s_cbranch_scc0 .LBB16_26
; %bb.20:
	s_add_i32 s1, s7, s6
	s_add_i32 s1, s1, s12
	s_mov_b64 s[4:5], -1
	s_and_b64 vcc, exec, s[2:3]
	s_cbranch_vccz .LBB16_22
; %bb.21:
	v_mad_u64_u32 v[2:3], s[4:5], s10, v14, 0
	v_mov_b32_e32 v4, v3
	v_mad_u64_u32 v[4:5], s[4:5], s11, v14, v[4:5]
	v_mov_b32_e32 v3, v4
	v_lshl_add_u64 v[2:3], v[2:3], 2, s[8:9]
	v_lshl_add_u64 v[2:3], v[6:7], 2, v[2:3]
	;; [unrolled: 1-line block ×3, first 2 shown]
	global_load_dword v1, v[2:3], off
	s_waitcnt vmcnt(0)
	v_mad_u64_u32 v[4:5], s[4:5], v1, s24, v[0:1]
	global_store_dword v[2:3], v4, off
	s_mov_b64 s[4:5], 0
.LBB16_22:
	s_andn2_b64 vcc, exec, s[4:5]
	s_cbranch_vccnz .LBB16_24
; %bb.23:
	v_mul_lo_u32 v1, s11, v6
	v_mul_lo_u32 v4, s10, v7
	v_mad_u64_u32 v[2:3], s[4:5], s10, v6, 0
	v_add3_u32 v3, v3, v4, v1
	v_lshl_add_u64 v[2:3], v[2:3], 2, s[8:9]
	v_lshlrev_b32_e32 v4, 2, v14
	v_mov_b32_e32 v5, 0
	v_lshl_add_u64 v[2:3], v[2:3], 0, v[4:5]
	v_lshl_add_u64 v[2:3], s[0:1], 2, v[2:3]
	global_load_dword v1, v[2:3], off
	s_waitcnt vmcnt(0)
	v_mad_u64_u32 v[4:5], s[4:5], v1, s24, v[0:1]
	global_store_dword v[2:3], v4, off
.LBB16_24:
	s_cbranch_execz .LBB16_27
.LBB16_25:
	s_endpgm
.LBB16_26:
.LBB16_27:
	s_add_i32 s1, s7, s6
	s_add_i32 s1, s1, s12
	s_mov_b64 s[4:5], -1
	s_and_b64 vcc, exec, s[2:3]
	s_cbranch_vccz .LBB16_29
; %bb.28:
	v_mad_u64_u32 v[2:3], s[2:3], s10, v14, 0
	v_mov_b32_e32 v4, v3
	v_mad_u64_u32 v[4:5], s[2:3], s11, v14, v[4:5]
	v_mov_b32_e32 v3, v4
	v_lshl_add_u64 v[2:3], v[2:3], 2, s[8:9]
	v_lshl_add_u64 v[2:3], v[6:7], 2, v[2:3]
	;; [unrolled: 1-line block ×3, first 2 shown]
	global_store_dword v[2:3], v0, off
	s_mov_b64 s[4:5], 0
.LBB16_29:
	s_andn2_b64 vcc, exec, s[4:5]
	s_cbranch_vccnz .LBB16_25
; %bb.30:
	v_mul_lo_u32 v1, s11, v6
	v_mul_lo_u32 v4, s10, v7
	v_mad_u64_u32 v[2:3], s[2:3], s10, v6, 0
	v_add3_u32 v3, v3, v4, v1
	v_lshl_add_u64 v[2:3], v[2:3], 2, s[8:9]
	v_lshlrev_b32_e32 v4, 2, v14
	v_mov_b32_e32 v5, 0
	v_lshl_add_u64 v[2:3], v[2:3], 0, v[4:5]
	v_lshl_add_u64 v[2:3], s[0:1], 2, v[2:3]
	global_store_dword v[2:3], v0, off
	s_endpgm
	.section	.rodata,"a",@progbits
	.p2align	6, 0x0
	.amdhsa_kernel _ZN9rocsparse31csrmmnn_row_split_shared_kernelILj256ELj8EiliaaiEEvNS_24const_host_device_scalarIT1_EES3_bbbT3_S4_llPKT2_PKS4_PKT4_PKT5_llPT6_ll16rocsparse_order_21rocsparse_index_base_
		.amdhsa_group_segment_fixed_size 2048
		.amdhsa_private_segment_fixed_size 0
		.amdhsa_kernarg_size 128
		.amdhsa_user_sgpr_count 2
		.amdhsa_user_sgpr_dispatch_ptr 0
		.amdhsa_user_sgpr_queue_ptr 0
		.amdhsa_user_sgpr_kernarg_segment_ptr 1
		.amdhsa_user_sgpr_dispatch_id 0
		.amdhsa_user_sgpr_kernarg_preload_length 0
		.amdhsa_user_sgpr_kernarg_preload_offset 0
		.amdhsa_user_sgpr_private_segment_size 0
		.amdhsa_uses_dynamic_stack 0
		.amdhsa_enable_private_segment 0
		.amdhsa_system_sgpr_workgroup_id_x 1
		.amdhsa_system_sgpr_workgroup_id_y 1
		.amdhsa_system_sgpr_workgroup_id_z 1
		.amdhsa_system_sgpr_workgroup_info 0
		.amdhsa_system_vgpr_workitem_id 0
		.amdhsa_next_free_vgpr 43
		.amdhsa_next_free_sgpr 28
		.amdhsa_accum_offset 44
		.amdhsa_reserve_vcc 1
		.amdhsa_float_round_mode_32 0
		.amdhsa_float_round_mode_16_64 0
		.amdhsa_float_denorm_mode_32 3
		.amdhsa_float_denorm_mode_16_64 3
		.amdhsa_dx10_clamp 1
		.amdhsa_ieee_mode 1
		.amdhsa_fp16_overflow 0
		.amdhsa_tg_split 0
		.amdhsa_exception_fp_ieee_invalid_op 0
		.amdhsa_exception_fp_denorm_src 0
		.amdhsa_exception_fp_ieee_div_zero 0
		.amdhsa_exception_fp_ieee_overflow 0
		.amdhsa_exception_fp_ieee_underflow 0
		.amdhsa_exception_fp_ieee_inexact 0
		.amdhsa_exception_int_div_zero 0
	.end_amdhsa_kernel
	.section	.text._ZN9rocsparse31csrmmnn_row_split_shared_kernelILj256ELj8EiliaaiEEvNS_24const_host_device_scalarIT1_EES3_bbbT3_S4_llPKT2_PKS4_PKT4_PKT5_llPT6_ll16rocsparse_order_21rocsparse_index_base_,"axG",@progbits,_ZN9rocsparse31csrmmnn_row_split_shared_kernelILj256ELj8EiliaaiEEvNS_24const_host_device_scalarIT1_EES3_bbbT3_S4_llPKT2_PKS4_PKT4_PKT5_llPT6_ll16rocsparse_order_21rocsparse_index_base_,comdat
.Lfunc_end16:
	.size	_ZN9rocsparse31csrmmnn_row_split_shared_kernelILj256ELj8EiliaaiEEvNS_24const_host_device_scalarIT1_EES3_bbbT3_S4_llPKT2_PKS4_PKT4_PKT5_llPT6_ll16rocsparse_order_21rocsparse_index_base_, .Lfunc_end16-_ZN9rocsparse31csrmmnn_row_split_shared_kernelILj256ELj8EiliaaiEEvNS_24const_host_device_scalarIT1_EES3_bbbT3_S4_llPKT2_PKS4_PKT4_PKT5_llPT6_ll16rocsparse_order_21rocsparse_index_base_
                                        ; -- End function
	.set _ZN9rocsparse31csrmmnn_row_split_shared_kernelILj256ELj8EiliaaiEEvNS_24const_host_device_scalarIT1_EES3_bbbT3_S4_llPKT2_PKS4_PKT4_PKT5_llPT6_ll16rocsparse_order_21rocsparse_index_base_.num_vgpr, 43
	.set _ZN9rocsparse31csrmmnn_row_split_shared_kernelILj256ELj8EiliaaiEEvNS_24const_host_device_scalarIT1_EES3_bbbT3_S4_llPKT2_PKS4_PKT4_PKT5_llPT6_ll16rocsparse_order_21rocsparse_index_base_.num_agpr, 0
	.set _ZN9rocsparse31csrmmnn_row_split_shared_kernelILj256ELj8EiliaaiEEvNS_24const_host_device_scalarIT1_EES3_bbbT3_S4_llPKT2_PKS4_PKT4_PKT5_llPT6_ll16rocsparse_order_21rocsparse_index_base_.numbered_sgpr, 28
	.set _ZN9rocsparse31csrmmnn_row_split_shared_kernelILj256ELj8EiliaaiEEvNS_24const_host_device_scalarIT1_EES3_bbbT3_S4_llPKT2_PKS4_PKT4_PKT5_llPT6_ll16rocsparse_order_21rocsparse_index_base_.num_named_barrier, 0
	.set _ZN9rocsparse31csrmmnn_row_split_shared_kernelILj256ELj8EiliaaiEEvNS_24const_host_device_scalarIT1_EES3_bbbT3_S4_llPKT2_PKS4_PKT4_PKT5_llPT6_ll16rocsparse_order_21rocsparse_index_base_.private_seg_size, 0
	.set _ZN9rocsparse31csrmmnn_row_split_shared_kernelILj256ELj8EiliaaiEEvNS_24const_host_device_scalarIT1_EES3_bbbT3_S4_llPKT2_PKS4_PKT4_PKT5_llPT6_ll16rocsparse_order_21rocsparse_index_base_.uses_vcc, 1
	.set _ZN9rocsparse31csrmmnn_row_split_shared_kernelILj256ELj8EiliaaiEEvNS_24const_host_device_scalarIT1_EES3_bbbT3_S4_llPKT2_PKS4_PKT4_PKT5_llPT6_ll16rocsparse_order_21rocsparse_index_base_.uses_flat_scratch, 0
	.set _ZN9rocsparse31csrmmnn_row_split_shared_kernelILj256ELj8EiliaaiEEvNS_24const_host_device_scalarIT1_EES3_bbbT3_S4_llPKT2_PKS4_PKT4_PKT5_llPT6_ll16rocsparse_order_21rocsparse_index_base_.has_dyn_sized_stack, 0
	.set _ZN9rocsparse31csrmmnn_row_split_shared_kernelILj256ELj8EiliaaiEEvNS_24const_host_device_scalarIT1_EES3_bbbT3_S4_llPKT2_PKS4_PKT4_PKT5_llPT6_ll16rocsparse_order_21rocsparse_index_base_.has_recursion, 0
	.set _ZN9rocsparse31csrmmnn_row_split_shared_kernelILj256ELj8EiliaaiEEvNS_24const_host_device_scalarIT1_EES3_bbbT3_S4_llPKT2_PKS4_PKT4_PKT5_llPT6_ll16rocsparse_order_21rocsparse_index_base_.has_indirect_call, 0
	.section	.AMDGPU.csdata,"",@progbits
; Kernel info:
; codeLenInByte = 1476
; TotalNumSgprs: 34
; NumVgprs: 43
; NumAgprs: 0
; TotalNumVgprs: 43
; ScratchSize: 0
; MemoryBound: 0
; FloatMode: 240
; IeeeMode: 1
; LDSByteSize: 2048 bytes/workgroup (compile time only)
; SGPRBlocks: 4
; VGPRBlocks: 5
; NumSGPRsForWavesPerEU: 34
; NumVGPRsForWavesPerEU: 43
; AccumOffset: 44
; Occupancy: 8
; WaveLimiterHint : 1
; COMPUTE_PGM_RSRC2:SCRATCH_EN: 0
; COMPUTE_PGM_RSRC2:USER_SGPR: 2
; COMPUTE_PGM_RSRC2:TRAP_HANDLER: 0
; COMPUTE_PGM_RSRC2:TGID_X_EN: 1
; COMPUTE_PGM_RSRC2:TGID_Y_EN: 1
; COMPUTE_PGM_RSRC2:TGID_Z_EN: 1
; COMPUTE_PGM_RSRC2:TIDIG_COMP_CNT: 0
; COMPUTE_PGM_RSRC3_GFX90A:ACCUM_OFFSET: 10
; COMPUTE_PGM_RSRC3_GFX90A:TG_SPLIT: 0
	.section	.text._ZN9rocsparse31csrmmnn_row_split_shared_kernelILj256ELj8EillaaiEEvNS_24const_host_device_scalarIT1_EES3_bbbT3_S4_llPKT2_PKS4_PKT4_PKT5_llPT6_ll16rocsparse_order_21rocsparse_index_base_,"axG",@progbits,_ZN9rocsparse31csrmmnn_row_split_shared_kernelILj256ELj8EillaaiEEvNS_24const_host_device_scalarIT1_EES3_bbbT3_S4_llPKT2_PKS4_PKT4_PKT5_llPT6_ll16rocsparse_order_21rocsparse_index_base_,comdat
	.protected	_ZN9rocsparse31csrmmnn_row_split_shared_kernelILj256ELj8EillaaiEEvNS_24const_host_device_scalarIT1_EES3_bbbT3_S4_llPKT2_PKS4_PKT4_PKT5_llPT6_ll16rocsparse_order_21rocsparse_index_base_ ; -- Begin function _ZN9rocsparse31csrmmnn_row_split_shared_kernelILj256ELj8EillaaiEEvNS_24const_host_device_scalarIT1_EES3_bbbT3_S4_llPKT2_PKS4_PKT4_PKT5_llPT6_ll16rocsparse_order_21rocsparse_index_base_
	.globl	_ZN9rocsparse31csrmmnn_row_split_shared_kernelILj256ELj8EillaaiEEvNS_24const_host_device_scalarIT1_EES3_bbbT3_S4_llPKT2_PKS4_PKT4_PKT5_llPT6_ll16rocsparse_order_21rocsparse_index_base_
	.p2align	8
	.type	_ZN9rocsparse31csrmmnn_row_split_shared_kernelILj256ELj8EillaaiEEvNS_24const_host_device_scalarIT1_EES3_bbbT3_S4_llPKT2_PKS4_PKT4_PKT5_llPT6_ll16rocsparse_order_21rocsparse_index_base_,@function
_ZN9rocsparse31csrmmnn_row_split_shared_kernelILj256ELj8EillaaiEEvNS_24const_host_device_scalarIT1_EES3_bbbT3_S4_llPKT2_PKS4_PKT4_PKT5_llPT6_ll16rocsparse_order_21rocsparse_index_base_: ; @_ZN9rocsparse31csrmmnn_row_split_shared_kernelILj256ELj8EillaaiEEvNS_24const_host_device_scalarIT1_EES3_bbbT3_S4_llPKT2_PKS4_PKT4_PKT5_llPT6_ll16rocsparse_order_21rocsparse_index_base_
; %bb.0:
	s_load_dword s5, s[0:1], 0x10
	s_load_dwordx4 s[8:11], s[0:1], 0x0
	s_mov_b64 s[12:13], -1
	s_waitcnt lgkmcnt(0)
	s_bitcmp1_b32 s5, 0
	s_cselect_b64 s[6:7], -1, 0
	s_xor_b64 s[6:7], s[6:7], -1
	s_and_b64 vcc, exec, s[6:7]
                                        ; implicit-def: $sgpr5
	s_cbranch_vccnz .LBB17_4
; %bb.1:
	s_andn2_b64 vcc, exec, s[12:13]
	s_cbranch_vccz .LBB17_5
.LBB17_2:
	s_and_b64 vcc, exec, s[6:7]
	s_cbranch_vccz .LBB17_6
.LBB17_3:
	s_load_dword s33, s[10:11], 0x0
	s_cbranch_execz .LBB17_7
	s_branch .LBB17_8
.LBB17_4:
	s_load_dword s5, s[8:9], 0x0
	s_cbranch_execnz .LBB17_2
.LBB17_5:
	s_waitcnt lgkmcnt(0)
	s_mov_b32 s5, s8
	s_and_b64 vcc, exec, s[6:7]
	s_cbranch_vccnz .LBB17_3
.LBB17_6:
                                        ; implicit-def: $sgpr33
.LBB17_7:
	s_waitcnt lgkmcnt(0)
	s_mov_b32 s33, s10
.LBB17_8:
	s_waitcnt lgkmcnt(0)
	s_cmp_eq_u32 s5, 0
	s_cselect_b64 s[6:7], -1, 0
	s_cmp_eq_u32 s33, 1
	s_cselect_b64 s[8:9], -1, 0
	s_and_b64 s[6:7], s[6:7], s[8:9]
	s_and_b64 vcc, exec, s[6:7]
	s_cbranch_vccnz .LBB17_25
; %bb.9:
	s_load_dwordx16 s[8:23], s[0:1], 0x18
	v_lshl_or_b32 v1, s2, 8, v0
	v_lshrrev_b32_e32 v6, 3, v1
	v_mov_b32_e32 v7, 0
	s_waitcnt lgkmcnt(0)
	v_cmp_gt_i64_e32 vcc, s[8:9], v[6:7]
	s_and_saveexec_b64 s[6:7], vcc
	s_cbranch_execz .LBB17_25
; %bb.10:
	s_mul_i32 s2, s13, s4
	s_mul_hi_u32 s6, s12, s4
	s_add_i32 s7, s6, s2
	s_mul_i32 s6, s12, s4
	s_lshl_b64 s[6:7], s[6:7], 3
	s_add_u32 s6, s16, s6
	s_addc_u32 s7, s17, s7
	v_lshlrev_b32_e32 v1, 3, v6
	global_load_dwordx4 v[2:5], v1, s[6:7]
	s_load_dwordx8 s[24:31], s[0:1], 0x58
	s_load_dwordx4 s[36:39], s[0:1], 0x78
	v_and_b32_e32 v10, 7, v0
	v_lshl_or_b32 v8, s3, 3, v10
	v_mov_b32_e32 v9, v7
	s_waitcnt vmcnt(0)
	v_cmp_lt_i64_e32 vcc, v[2:3], v[4:5]
	s_and_saveexec_b64 s[2:3], vcc
	s_cbranch_execz .LBB17_18
; %bb.11:
	v_mov_b32_e32 v12, s22
	v_mov_b32_e32 v13, s23
	s_mul_i32 s6, s15, s4
	s_mul_hi_u32 s0, s14, s4
	v_lshrrev_b32_e32 v7, 3, v0
	v_mov_b32_e32 v16, 0x800
	s_add_i32 s7, s0, s6
	s_waitcnt lgkmcnt(0)
	v_mad_u64_u32 v[12:13], s[0:1], s24, v8, v[12:13]
	v_lshl_or_b32 v20, v7, 5, v16
	v_mov_b32_e32 v16, v13
	v_mad_u64_u32 v[16:17], s[0:1], s25, v8, v[16:17]
	v_subrev_co_u32_e32 v4, vcc, s39, v4
	v_lshlrev_b32_e32 v18, 6, v7
	v_mov_b32_e32 v13, v16
	v_mov_b32_e32 v7, s4
	v_subbrev_co_u32_e32 v5, vcc, 0, v5, vcc
	v_mad_u64_u32 v[12:13], s[0:1], s26, v7, v[12:13]
	v_subrev_co_u32_e32 v0, vcc, s39, v2
	s_mul_i32 s0, s27, s4
	s_nop 0
	v_subbrev_co_u32_e32 v1, vcc, 0, v3, vcc
	v_add_u32_e32 v13, s0, v13
	v_mad_u64_u32 v[2:3], s[0:1], s14, v7, v[2:3]
	v_mov_b32_e32 v11, 0
	v_add_u32_e32 v3, s6, v3
	v_lshl_add_u64 v[2:3], v[2:3], 0, v[10:11]
	v_subrev_co_u32_e64 v2, s[0:1], s39, v2
	s_mul_i32 s8, s14, s4
	s_nop 0
	v_subbrev_co_u32_e64 v3, s[0:1], 0, v3, s[0:1]
	s_add_u32 s0, s20, s8
	v_mov_b32_e32 v14, s18
	v_mov_b32_e32 v15, s19
	s_addc_u32 s1, s21, s7
	s_mov_b32 s12, s39
	v_lshl_or_b32 v19, v10, 3, v18
	v_lshl_or_b32 v21, v10, 2, v20
	v_cmp_gt_i64_e32 vcc, s[10:11], v[8:9]
	v_lshl_add_u64 v[2:3], v[2:3], 3, v[14:15]
	v_lshl_add_u64 v[14:15], s[0:1], 0, v[10:11]
	s_mov_b64 s[6:7], 0
	v_mov_b32_e32 v7, v11
	s_branch .LBB17_13
.LBB17_12:                              ;   in Loop: Header=BB17_13 Depth=1
	s_or_b64 exec, exec, s[0:1]
	v_lshl_add_u64 v[0:1], v[0:1], 0, 8
	v_cmp_ge_i64_e64 s[0:1], v[0:1], v[4:5]
	s_or_b64 s[6:7], s[0:1], s[6:7]
	v_lshl_add_u64 v[2:3], v[2:3], 0, 64
	s_andn2_b64 exec, exec, s[6:7]
	s_cbranch_execz .LBB17_17
.LBB17_13:                              ; =>This Inner Loop Header: Depth=1
	v_lshl_add_u64 v[16:17], v[10:11], 0, v[0:1]
	v_cmp_lt_i64_e64 s[0:1], v[16:17], v[4:5]
	v_mov_b64_e32 v[16:17], 0
	v_mov_b32_e32 v22, 0
	s_barrier
	s_and_saveexec_b64 s[8:9], s[0:1]
	s_cbranch_execz .LBB17_15
; %bb.14:                               ;   in Loop: Header=BB17_13 Depth=1
	global_load_dwordx2 v[16:17], v[2:3], off
	v_lshl_add_u64 v[22:23], v[14:15], 0, v[0:1]
	global_load_sbyte v22, v[22:23], off
	s_waitcnt vmcnt(1)
	v_subrev_co_u32_e64 v16, s[0:1], s12, v16
	s_nop 1
	v_subbrev_co_u32_e64 v17, s[0:1], 0, v17, s[0:1]
.LBB17_15:                              ;   in Loop: Header=BB17_13 Depth=1
	s_or_b64 exec, exec, s[8:9]
	ds_write_b64 v19, v[16:17]
	s_waitcnt vmcnt(0)
	ds_write_b32 v21, v22
	s_waitcnt lgkmcnt(0)
	s_barrier
	s_and_saveexec_b64 s[0:1], vcc
	s_cbranch_execz .LBB17_12
; %bb.16:                               ;   in Loop: Header=BB17_13 Depth=1
	ds_read_b128 v[22:25], v18
	ds_read_b128 v[26:29], v18 offset:16
	ds_read_b128 v[30:33], v18 offset:32
	;; [unrolled: 1-line block ×3, first 2 shown]
	s_waitcnt lgkmcnt(3)
	v_lshl_add_u64 v[16:17], v[12:13], 0, v[22:23]
	v_lshl_add_u64 v[22:23], v[12:13], 0, v[24:25]
	s_waitcnt lgkmcnt(2)
	v_lshl_add_u64 v[24:25], v[12:13], 0, v[26:27]
	v_lshl_add_u64 v[26:27], v[12:13], 0, v[28:29]
	;; [unrolled: 3-line block ×3, first 2 shown]
	s_waitcnt lgkmcnt(0)
	v_lshl_add_u64 v[32:33], v[12:13], 0, v[34:35]
	global_load_sbyte v34, v[16:17], off
	global_load_sbyte v35, v[22:23], off
	global_load_sbyte v38, v[24:25], off
	global_load_sbyte v39, v[26:27], off
	global_load_sbyte v40, v[28:29], off
	global_load_sbyte v41, v[30:31], off
	global_load_sbyte v42, v[32:33], off
	v_lshl_add_u64 v[16:17], v[12:13], 0, v[36:37]
	global_load_sbyte v16, v[16:17], off
	ds_read_b128 v[22:25], v20
	ds_read_b128 v[26:29], v20 offset:16
	s_waitcnt vmcnt(7) lgkmcnt(1)
	v_mul_lo_u32 v17, v22, v34
	s_waitcnt vmcnt(6)
	v_mul_lo_u32 v22, v23, v35
	s_waitcnt vmcnt(5)
	;; [unrolled: 2-line block ×3, first 2 shown]
	v_mul_lo_u32 v24, v25, v39
	v_add3_u32 v7, v17, v7, v22
	s_waitcnt vmcnt(3) lgkmcnt(0)
	v_mul_lo_u32 v25, v26, v40
	s_waitcnt vmcnt(2)
	v_mul_lo_u32 v26, v27, v41
	v_add3_u32 v7, v7, v23, v24
	s_waitcnt vmcnt(1)
	v_mul_lo_u32 v27, v28, v42
	v_add3_u32 v7, v7, v25, v26
	;; [unrolled: 3-line block ×3, first 2 shown]
	s_branch .LBB17_12
.LBB17_17:
	s_or_b64 exec, exec, s[6:7]
.LBB17_18:
	s_or_b64 exec, exec, s[2:3]
	v_cmp_gt_i64_e32 vcc, s[10:11], v[8:9]
	s_and_b64 exec, exec, vcc
	s_cbranch_execz .LBB17_25
; %bb.19:
	s_waitcnt lgkmcnt(0)
	s_cmp_lg_u32 s38, 1
	s_cselect_b64 s[2:3], -1, 0
	s_cmp_lg_u32 s33, 0
	v_mul_lo_u32 v0, v7, s5
	s_mul_i32 s6, s37, s4
	s_mul_hi_u32 s7, s36, s4
	s_mul_i32 s0, s36, s4
	s_cbranch_scc0 .LBB17_26
; %bb.20:
	s_add_i32 s1, s7, s6
	s_mov_b64 s[4:5], -1
	s_and_b64 vcc, exec, s[2:3]
	s_cbranch_vccz .LBB17_22
; %bb.21:
	v_mad_u64_u32 v[2:3], s[4:5], s30, v6, 0
	v_mov_b32_e32 v4, v3
	v_mad_u64_u32 v[4:5], s[4:5], s31, v6, v[4:5]
	v_mov_b32_e32 v3, v4
	v_lshl_add_u64 v[2:3], v[2:3], 2, s[28:29]
	v_lshl_add_u64 v[2:3], v[8:9], 2, v[2:3]
	;; [unrolled: 1-line block ×3, first 2 shown]
	global_load_dword v1, v[2:3], off
	s_waitcnt vmcnt(0)
	v_mad_u64_u32 v[4:5], s[4:5], v1, s33, v[0:1]
	global_store_dword v[2:3], v4, off
	s_mov_b64 s[4:5], 0
.LBB17_22:
	s_andn2_b64 vcc, exec, s[4:5]
	s_cbranch_vccnz .LBB17_24
; %bb.23:
	v_mad_u64_u32 v[2:3], s[4:5], s30, v8, 0
	v_mov_b32_e32 v4, v3
	v_mad_u64_u32 v[4:5], s[4:5], s31, v8, v[4:5]
	v_mov_b32_e32 v3, v4
	v_lshl_add_u64 v[2:3], v[2:3], 2, s[28:29]
	v_lshlrev_b32_e32 v4, 2, v6
	v_mov_b32_e32 v5, 0
	v_lshl_add_u64 v[2:3], v[2:3], 0, v[4:5]
	v_lshl_add_u64 v[2:3], s[0:1], 2, v[2:3]
	global_load_dword v1, v[2:3], off
	s_waitcnt vmcnt(0)
	v_mad_u64_u32 v[4:5], s[4:5], v1, s33, v[0:1]
	global_store_dword v[2:3], v4, off
.LBB17_24:
	s_cbranch_execz .LBB17_27
.LBB17_25:
	s_endpgm
.LBB17_26:
.LBB17_27:
	s_add_i32 s1, s7, s6
	s_mov_b64 s[4:5], -1
	s_and_b64 vcc, exec, s[2:3]
	s_cbranch_vccz .LBB17_29
; %bb.28:
	v_mad_u64_u32 v[2:3], s[2:3], s30, v6, 0
	v_mov_b32_e32 v4, v3
	v_mad_u64_u32 v[4:5], s[2:3], s31, v6, v[4:5]
	v_mov_b32_e32 v3, v4
	v_lshl_add_u64 v[2:3], v[2:3], 2, s[28:29]
	v_lshl_add_u64 v[2:3], v[8:9], 2, v[2:3]
	v_lshl_add_u64 v[2:3], s[0:1], 2, v[2:3]
	global_store_dword v[2:3], v0, off
	s_mov_b64 s[4:5], 0
.LBB17_29:
	s_andn2_b64 vcc, exec, s[4:5]
	s_cbranch_vccnz .LBB17_25
; %bb.30:
	v_mad_u64_u32 v[2:3], s[2:3], s30, v8, 0
	v_mov_b32_e32 v4, v3
	v_mad_u64_u32 v[4:5], s[2:3], s31, v8, v[4:5]
	v_mov_b32_e32 v3, v4
	v_lshl_add_u64 v[2:3], v[2:3], 2, s[28:29]
	v_lshlrev_b32_e32 v4, 2, v6
	v_mov_b32_e32 v5, 0
	v_lshl_add_u64 v[2:3], v[2:3], 0, v[4:5]
	v_lshl_add_u64 v[2:3], s[0:1], 2, v[2:3]
	global_store_dword v[2:3], v0, off
	s_endpgm
	.section	.rodata,"a",@progbits
	.p2align	6, 0x0
	.amdhsa_kernel _ZN9rocsparse31csrmmnn_row_split_shared_kernelILj256ELj8EillaaiEEvNS_24const_host_device_scalarIT1_EES3_bbbT3_S4_llPKT2_PKS4_PKT4_PKT5_llPT6_ll16rocsparse_order_21rocsparse_index_base_
		.amdhsa_group_segment_fixed_size 3072
		.amdhsa_private_segment_fixed_size 0
		.amdhsa_kernarg_size 136
		.amdhsa_user_sgpr_count 2
		.amdhsa_user_sgpr_dispatch_ptr 0
		.amdhsa_user_sgpr_queue_ptr 0
		.amdhsa_user_sgpr_kernarg_segment_ptr 1
		.amdhsa_user_sgpr_dispatch_id 0
		.amdhsa_user_sgpr_kernarg_preload_length 0
		.amdhsa_user_sgpr_kernarg_preload_offset 0
		.amdhsa_user_sgpr_private_segment_size 0
		.amdhsa_uses_dynamic_stack 0
		.amdhsa_enable_private_segment 0
		.amdhsa_system_sgpr_workgroup_id_x 1
		.amdhsa_system_sgpr_workgroup_id_y 1
		.amdhsa_system_sgpr_workgroup_id_z 1
		.amdhsa_system_sgpr_workgroup_info 0
		.amdhsa_system_vgpr_workitem_id 0
		.amdhsa_next_free_vgpr 43
		.amdhsa_next_free_sgpr 40
		.amdhsa_accum_offset 44
		.amdhsa_reserve_vcc 1
		.amdhsa_float_round_mode_32 0
		.amdhsa_float_round_mode_16_64 0
		.amdhsa_float_denorm_mode_32 3
		.amdhsa_float_denorm_mode_16_64 3
		.amdhsa_dx10_clamp 1
		.amdhsa_ieee_mode 1
		.amdhsa_fp16_overflow 0
		.amdhsa_tg_split 0
		.amdhsa_exception_fp_ieee_invalid_op 0
		.amdhsa_exception_fp_denorm_src 0
		.amdhsa_exception_fp_ieee_div_zero 0
		.amdhsa_exception_fp_ieee_overflow 0
		.amdhsa_exception_fp_ieee_underflow 0
		.amdhsa_exception_fp_ieee_inexact 0
		.amdhsa_exception_int_div_zero 0
	.end_amdhsa_kernel
	.section	.text._ZN9rocsparse31csrmmnn_row_split_shared_kernelILj256ELj8EillaaiEEvNS_24const_host_device_scalarIT1_EES3_bbbT3_S4_llPKT2_PKS4_PKT4_PKT5_llPT6_ll16rocsparse_order_21rocsparse_index_base_,"axG",@progbits,_ZN9rocsparse31csrmmnn_row_split_shared_kernelILj256ELj8EillaaiEEvNS_24const_host_device_scalarIT1_EES3_bbbT3_S4_llPKT2_PKS4_PKT4_PKT5_llPT6_ll16rocsparse_order_21rocsparse_index_base_,comdat
.Lfunc_end17:
	.size	_ZN9rocsparse31csrmmnn_row_split_shared_kernelILj256ELj8EillaaiEEvNS_24const_host_device_scalarIT1_EES3_bbbT3_S4_llPKT2_PKS4_PKT4_PKT5_llPT6_ll16rocsparse_order_21rocsparse_index_base_, .Lfunc_end17-_ZN9rocsparse31csrmmnn_row_split_shared_kernelILj256ELj8EillaaiEEvNS_24const_host_device_scalarIT1_EES3_bbbT3_S4_llPKT2_PKS4_PKT4_PKT5_llPT6_ll16rocsparse_order_21rocsparse_index_base_
                                        ; -- End function
	.set _ZN9rocsparse31csrmmnn_row_split_shared_kernelILj256ELj8EillaaiEEvNS_24const_host_device_scalarIT1_EES3_bbbT3_S4_llPKT2_PKS4_PKT4_PKT5_llPT6_ll16rocsparse_order_21rocsparse_index_base_.num_vgpr, 43
	.set _ZN9rocsparse31csrmmnn_row_split_shared_kernelILj256ELj8EillaaiEEvNS_24const_host_device_scalarIT1_EES3_bbbT3_S4_llPKT2_PKS4_PKT4_PKT5_llPT6_ll16rocsparse_order_21rocsparse_index_base_.num_agpr, 0
	.set _ZN9rocsparse31csrmmnn_row_split_shared_kernelILj256ELj8EillaaiEEvNS_24const_host_device_scalarIT1_EES3_bbbT3_S4_llPKT2_PKS4_PKT4_PKT5_llPT6_ll16rocsparse_order_21rocsparse_index_base_.numbered_sgpr, 40
	.set _ZN9rocsparse31csrmmnn_row_split_shared_kernelILj256ELj8EillaaiEEvNS_24const_host_device_scalarIT1_EES3_bbbT3_S4_llPKT2_PKS4_PKT4_PKT5_llPT6_ll16rocsparse_order_21rocsparse_index_base_.num_named_barrier, 0
	.set _ZN9rocsparse31csrmmnn_row_split_shared_kernelILj256ELj8EillaaiEEvNS_24const_host_device_scalarIT1_EES3_bbbT3_S4_llPKT2_PKS4_PKT4_PKT5_llPT6_ll16rocsparse_order_21rocsparse_index_base_.private_seg_size, 0
	.set _ZN9rocsparse31csrmmnn_row_split_shared_kernelILj256ELj8EillaaiEEvNS_24const_host_device_scalarIT1_EES3_bbbT3_S4_llPKT2_PKS4_PKT4_PKT5_llPT6_ll16rocsparse_order_21rocsparse_index_base_.uses_vcc, 1
	.set _ZN9rocsparse31csrmmnn_row_split_shared_kernelILj256ELj8EillaaiEEvNS_24const_host_device_scalarIT1_EES3_bbbT3_S4_llPKT2_PKS4_PKT4_PKT5_llPT6_ll16rocsparse_order_21rocsparse_index_base_.uses_flat_scratch, 0
	.set _ZN9rocsparse31csrmmnn_row_split_shared_kernelILj256ELj8EillaaiEEvNS_24const_host_device_scalarIT1_EES3_bbbT3_S4_llPKT2_PKS4_PKT4_PKT5_llPT6_ll16rocsparse_order_21rocsparse_index_base_.has_dyn_sized_stack, 0
	.set _ZN9rocsparse31csrmmnn_row_split_shared_kernelILj256ELj8EillaaiEEvNS_24const_host_device_scalarIT1_EES3_bbbT3_S4_llPKT2_PKS4_PKT4_PKT5_llPT6_ll16rocsparse_order_21rocsparse_index_base_.has_recursion, 0
	.set _ZN9rocsparse31csrmmnn_row_split_shared_kernelILj256ELj8EillaaiEEvNS_24const_host_device_scalarIT1_EES3_bbbT3_S4_llPKT2_PKS4_PKT4_PKT5_llPT6_ll16rocsparse_order_21rocsparse_index_base_.has_indirect_call, 0
	.section	.AMDGPU.csdata,"",@progbits
; Kernel info:
; codeLenInByte = 1396
; TotalNumSgprs: 46
; NumVgprs: 43
; NumAgprs: 0
; TotalNumVgprs: 43
; ScratchSize: 0
; MemoryBound: 0
; FloatMode: 240
; IeeeMode: 1
; LDSByteSize: 3072 bytes/workgroup (compile time only)
; SGPRBlocks: 5
; VGPRBlocks: 5
; NumSGPRsForWavesPerEU: 46
; NumVGPRsForWavesPerEU: 43
; AccumOffset: 44
; Occupancy: 8
; WaveLimiterHint : 0
; COMPUTE_PGM_RSRC2:SCRATCH_EN: 0
; COMPUTE_PGM_RSRC2:USER_SGPR: 2
; COMPUTE_PGM_RSRC2:TRAP_HANDLER: 0
; COMPUTE_PGM_RSRC2:TGID_X_EN: 1
; COMPUTE_PGM_RSRC2:TGID_Y_EN: 1
; COMPUTE_PGM_RSRC2:TGID_Z_EN: 1
; COMPUTE_PGM_RSRC2:TIDIG_COMP_CNT: 0
; COMPUTE_PGM_RSRC3_GFX90A:ACCUM_OFFSET: 10
; COMPUTE_PGM_RSRC3_GFX90A:TG_SPLIT: 0
	.section	.text._ZN9rocsparse31csrmmnn_row_split_shared_kernelILj256ELj8EfiiaafEEvNS_24const_host_device_scalarIT1_EES3_bbbT3_S4_llPKT2_PKS4_PKT4_PKT5_llPT6_ll16rocsparse_order_21rocsparse_index_base_,"axG",@progbits,_ZN9rocsparse31csrmmnn_row_split_shared_kernelILj256ELj8EfiiaafEEvNS_24const_host_device_scalarIT1_EES3_bbbT3_S4_llPKT2_PKS4_PKT4_PKT5_llPT6_ll16rocsparse_order_21rocsparse_index_base_,comdat
	.protected	_ZN9rocsparse31csrmmnn_row_split_shared_kernelILj256ELj8EfiiaafEEvNS_24const_host_device_scalarIT1_EES3_bbbT3_S4_llPKT2_PKS4_PKT4_PKT5_llPT6_ll16rocsparse_order_21rocsparse_index_base_ ; -- Begin function _ZN9rocsparse31csrmmnn_row_split_shared_kernelILj256ELj8EfiiaafEEvNS_24const_host_device_scalarIT1_EES3_bbbT3_S4_llPKT2_PKS4_PKT4_PKT5_llPT6_ll16rocsparse_order_21rocsparse_index_base_
	.globl	_ZN9rocsparse31csrmmnn_row_split_shared_kernelILj256ELj8EfiiaafEEvNS_24const_host_device_scalarIT1_EES3_bbbT3_S4_llPKT2_PKS4_PKT4_PKT5_llPT6_ll16rocsparse_order_21rocsparse_index_base_
	.p2align	8
	.type	_ZN9rocsparse31csrmmnn_row_split_shared_kernelILj256ELj8EfiiaafEEvNS_24const_host_device_scalarIT1_EES3_bbbT3_S4_llPKT2_PKS4_PKT4_PKT5_llPT6_ll16rocsparse_order_21rocsparse_index_base_,@function
_ZN9rocsparse31csrmmnn_row_split_shared_kernelILj256ELj8EfiiaafEEvNS_24const_host_device_scalarIT1_EES3_bbbT3_S4_llPKT2_PKS4_PKT4_PKT5_llPT6_ll16rocsparse_order_21rocsparse_index_base_: ; @_ZN9rocsparse31csrmmnn_row_split_shared_kernelILj256ELj8EfiiaafEEvNS_24const_host_device_scalarIT1_EES3_bbbT3_S4_llPKT2_PKS4_PKT4_PKT5_llPT6_ll16rocsparse_order_21rocsparse_index_base_
; %bb.0:
	s_load_dwordx8 s[24:31], s[0:1], 0x0
	s_waitcnt lgkmcnt(0)
	s_bitcmp1_b32 s28, 0
	s_cselect_b64 s[8:9], -1, 0
	s_xor_b64 s[6:7], s[8:9], -1
	s_and_b64 vcc, exec, s[8:9]
	s_cbranch_vccnz .LBB18_2
; %bb.1:
	s_load_dword s24, s[24:25], 0x0
.LBB18_2:
	s_andn2_b64 vcc, exec, s[6:7]
	s_cbranch_vccnz .LBB18_4
; %bb.3:
	s_load_dword s26, s[26:27], 0x0
.LBB18_4:
	s_waitcnt lgkmcnt(0)
	v_cmp_eq_f32_e64 s[6:7], s24, 0
	v_cmp_eq_f32_e64 s[8:9], s26, 1.0
	s_and_b64 s[6:7], s[6:7], s[8:9]
	s_and_b64 vcc, exec, s[6:7]
	s_cbranch_vccnz .LBB18_21
; %bb.5:
	v_lshl_or_b32 v1, s2, 8, v0
	v_lshrrev_b32_e32 v8, 3, v1
	v_cmp_gt_i32_e32 vcc, s29, v8
	s_and_saveexec_b64 s[6:7], vcc
	s_cbranch_execz .LBB18_21
; %bb.6:
	s_load_dwordx16 s[8:23], s[0:1], 0x20
	s_ashr_i32 s5, s4, 31
	v_lshlrev_b32_e32 v2, 2, v8
	v_and_b32_e32 v3, 7, v0
	v_lshl_or_b32 v4, s3, 3, v3
	s_waitcnt lgkmcnt(0)
	s_mul_hi_u32 s2, s8, s4
	s_mul_i32 s7, s8, s5
	s_mul_i32 s9, s9, s4
	s_add_i32 s2, s2, s7
	s_mul_i32 s6, s8, s4
	s_add_i32 s7, s2, s9
	s_lshl_b64 s[6:7], s[6:7], 2
	s_add_u32 s6, s12, s6
	s_addc_u32 s7, s13, s7
	global_load_dwordx2 v[6:7], v2, s[6:7]
	s_load_dwordx2 s[6:7], s[0:1], 0x78
	v_ashrrev_i32_e32 v5, 31, v4
	v_mov_b32_e32 v10, 0
	s_waitcnt vmcnt(0)
	v_cmp_lt_i32_e32 vcc, v6, v7
	s_and_saveexec_b64 s[8:9], vcc
	s_cbranch_execz .LBB18_14
; %bb.7:
	v_lshlrev_b32_e32 v0, 2, v0
	v_and_b32_e32 v12, 0x3e0, v0
	s_mul_i32 s2, s10, s5
	s_mul_hi_u32 s3, s10, s4
	v_mov_b32_e32 v16, s18
	v_mov_b32_e32 v17, s19
	v_lshlrev_b32_e32 v0, 2, v3
	v_or_b32_e32 v14, 0x400, v12
	s_add_i32 s2, s3, s2
	s_mul_i32 s3, s11, s4
	s_waitcnt lgkmcnt(0)
	v_subrev_u32_e32 v9, s7, v7
	v_subrev_u32_e32 v11, s7, v6
	v_or_b32_e32 v13, v12, v0
	v_or_b32_e32 v15, v14, v0
	s_add_i32 s11, s2, s3
	v_mul_lo_u32 v6, s20, v5
	v_mul_lo_u32 v7, s21, v4
	v_mad_u64_u32 v[0:1], s[2:3], s20, v4, v[16:17]
	v_add3_u32 v1, v7, v1, v6
	v_mov_b32_e32 v6, s4
	v_mad_u64_u32 v[0:1], s[2:3], s22, v6, v[0:1]
	s_mul_i32 s2, s23, s4
	s_mul_i32 s3, s22, s5
	s_add_i32 s3, s3, s2
	s_mul_i32 s10, s10, s4
	v_cmp_gt_i32_e32 vcc, s30, v4
	v_add_u32_e32 v1, s3, v1
	v_mov_b32_e32 v10, 0
	s_mov_b64 s[12:13], 0
	s_branch .LBB18_9
.LBB18_8:                               ;   in Loop: Header=BB18_9 Depth=1
	s_or_b64 exec, exec, s[2:3]
	v_add_u32_e32 v11, 8, v11
	v_cmp_ge_i32_e64 s[2:3], v11, v9
	s_or_b64 s[12:13], s[2:3], s[12:13]
	s_andn2_b64 exec, exec, s[12:13]
	s_cbranch_execz .LBB18_13
.LBB18_9:                               ; =>This Inner Loop Header: Depth=1
	v_add_u32_e32 v6, v3, v11
	v_cmp_lt_i32_e64 s[2:3], v6, v9
	v_mov_b32_e32 v16, 0
	v_mov_b32_e32 v7, 0
	s_barrier
	s_and_saveexec_b64 s[18:19], s[2:3]
	s_cbranch_execz .LBB18_11
; %bb.10:                               ;   in Loop: Header=BB18_9 Depth=1
	v_ashrrev_i32_e32 v7, 31, v6
	v_lshl_add_u64 v[6:7], s[10:11], 0, v[6:7]
	v_lshl_add_u64 v[16:17], s[16:17], 0, v[6:7]
	global_load_sbyte v16, v[16:17], off
	v_lshl_add_u64 v[6:7], v[6:7], 2, s[14:15]
	global_load_dword v6, v[6:7], off
	s_waitcnt vmcnt(1)
	v_cvt_f32_i32_e32 v7, v16
	s_waitcnt vmcnt(0)
	v_subrev_u32_e32 v16, s7, v6
.LBB18_11:                              ;   in Loop: Header=BB18_9 Depth=1
	s_or_b64 exec, exec, s[18:19]
	ds_write_b32 v13, v16
	ds_write_b32 v15, v7
	s_waitcnt lgkmcnt(0)
	s_barrier
	s_and_saveexec_b64 s[2:3], vcc
	s_cbranch_execz .LBB18_8
; %bb.12:                               ;   in Loop: Header=BB18_9 Depth=1
	ds_read_b128 v[16:19], v12
	ds_read_b128 v[20:23], v12 offset:16
	s_waitcnt lgkmcnt(1)
	v_ashrrev_i32_e32 v7, 31, v16
	v_mov_b32_e32 v6, v16
	v_ashrrev_i32_e32 v25, 31, v17
	v_mov_b32_e32 v24, v17
	v_ashrrev_i32_e32 v27, 31, v19
	v_mov_b32_e32 v26, v19
	s_waitcnt lgkmcnt(0)
	v_ashrrev_i32_e32 v29, 31, v21
	v_mov_b32_e32 v28, v21
	v_lshl_add_u64 v[6:7], v[0:1], 0, v[6:7]
	v_lshl_add_u64 v[16:17], v[0:1], 0, v[24:25]
	v_ashrrev_i32_e32 v25, 31, v18
	v_mov_b32_e32 v24, v18
	v_lshl_add_u64 v[18:19], v[0:1], 0, v[26:27]
	v_ashrrev_i32_e32 v27, 31, v20
	v_mov_b32_e32 v26, v20
	;; [unrolled: 3-line block ×3, first 2 shown]
	v_lshl_add_u64 v[24:25], v[0:1], 0, v[24:25]
	v_lshl_add_u64 v[26:27], v[0:1], 0, v[26:27]
	;; [unrolled: 1-line block ×3, first 2 shown]
	global_load_sbyte v30, v[6:7], off
	global_load_sbyte v31, v[16:17], off
	global_load_sbyte v32, v[24:25], off
	global_load_sbyte v33, v[18:19], off
	global_load_sbyte v34, v[26:27], off
	global_load_sbyte v35, v[20:21], off
	global_load_sbyte v36, v[28:29], off
	v_ashrrev_i32_e32 v7, 31, v23
	v_mov_b32_e32 v6, v23
	v_lshl_add_u64 v[6:7], v[0:1], 0, v[6:7]
	global_load_sbyte v6, v[6:7], off
	ds_read_b128 v[16:19], v14
	ds_read_b128 v[20:23], v14 offset:16
	s_waitcnt vmcnt(7)
	v_cvt_f32_i32_e32 v7, v30
	s_waitcnt vmcnt(6)
	v_cvt_f32_i32_e32 v24, v31
	;; [unrolled: 2-line block ×5, first 2 shown]
	s_waitcnt lgkmcnt(1)
	v_fmac_f32_e32 v10, v16, v7
	s_waitcnt vmcnt(2)
	v_cvt_f32_i32_e32 v28, v35
	v_fmac_f32_e32 v10, v17, v24
	s_waitcnt vmcnt(1)
	v_cvt_f32_i32_e32 v29, v36
	v_fmac_f32_e32 v10, v18, v25
	v_fmac_f32_e32 v10, v19, v26
	s_waitcnt vmcnt(0)
	v_cvt_f32_i32_e32 v6, v6
	s_waitcnt lgkmcnt(0)
	v_fmac_f32_e32 v10, v20, v27
	v_fmac_f32_e32 v10, v21, v28
	;; [unrolled: 1-line block ×4, first 2 shown]
	s_branch .LBB18_8
.LBB18_13:
	s_or_b64 exec, exec, s[12:13]
.LBB18_14:
	s_or_b64 exec, exec, s[8:9]
	v_cmp_gt_i32_e32 vcc, s30, v4
	s_and_b64 exec, exec, vcc
	s_cbranch_execz .LBB18_21
; %bb.15:
	s_load_dwordx4 s[8:11], s[0:1], 0x60
	s_load_dwordx2 s[14:15], s[0:1], 0x70
	v_cmp_neq_f32_e64 s[0:1], s26, 0
	s_waitcnt lgkmcnt(0)
	s_cmp_lg_u32 s6, 1
	s_cselect_b64 s[2:3], -1, 0
	s_and_b64 vcc, exec, s[0:1]
	v_mul_f32_e32 v0, s24, v10
	s_mul_i32 s6, s14, s5
	s_mul_hi_u32 s7, s14, s4
	s_mul_i32 s12, s15, s4
	s_mul_i32 s0, s14, s4
	s_cbranch_vccz .LBB18_22
; %bb.16:
	s_add_i32 s1, s7, s6
	s_add_i32 s1, s1, s12
	s_mov_b64 s[4:5], -1
	s_and_b64 vcc, exec, s[2:3]
	s_cbranch_vccz .LBB18_18
; %bb.17:
	v_mad_u64_u32 v[6:7], s[4:5], s10, v8, 0
	v_mov_b32_e32 v10, v7
	v_mad_u64_u32 v[10:11], s[4:5], s11, v8, v[10:11]
	v_mov_b32_e32 v7, v10
	v_lshl_add_u64 v[6:7], v[6:7], 2, s[8:9]
	v_lshl_add_u64 v[6:7], v[4:5], 2, v[6:7]
	v_lshl_add_u64 v[6:7], s[0:1], 2, v[6:7]
	global_load_dword v1, v[6:7], off
	s_mov_b64 s[4:5], 0
	s_waitcnt vmcnt(0)
	v_fma_f32 v1, s26, v1, v0
	global_store_dword v[6:7], v1, off
.LBB18_18:
	s_andn2_b64 vcc, exec, s[4:5]
	s_cbranch_vccnz .LBB18_20
; %bb.19:
	v_mul_lo_u32 v1, s11, v4
	v_mul_lo_u32 v3, s10, v5
	v_mad_u64_u32 v[6:7], s[4:5], s10, v4, 0
	v_add3_u32 v7, v7, v3, v1
	v_lshl_add_u64 v[6:7], v[6:7], 2, s[8:9]
	v_mov_b32_e32 v3, 0
	v_lshl_add_u64 v[6:7], v[6:7], 0, v[2:3]
	v_lshl_add_u64 v[6:7], s[0:1], 2, v[6:7]
	global_load_dword v1, v[6:7], off
	s_waitcnt vmcnt(0)
	v_fma_f32 v1, s26, v1, v0
	global_store_dword v[6:7], v1, off
.LBB18_20:
	s_cbranch_execz .LBB18_23
.LBB18_21:
	s_endpgm
.LBB18_22:
.LBB18_23:
	s_add_i32 s1, s7, s6
	s_add_i32 s1, s1, s12
	s_mov_b64 s[4:5], -1
	s_and_b64 vcc, exec, s[2:3]
	s_cbranch_vccz .LBB18_25
; %bb.24:
	v_mad_u64_u32 v[6:7], s[2:3], s10, v8, 0
	v_mov_b32_e32 v10, v7
	v_mad_u64_u32 v[8:9], s[2:3], s11, v8, v[10:11]
	v_mov_b32_e32 v7, v8
	v_lshl_add_u64 v[6:7], v[6:7], 2, s[8:9]
	v_lshl_add_u64 v[6:7], v[4:5], 2, v[6:7]
	v_lshl_add_u64 v[6:7], s[0:1], 2, v[6:7]
	global_store_dword v[6:7], v0, off
	s_mov_b64 s[4:5], 0
.LBB18_25:
	s_andn2_b64 vcc, exec, s[4:5]
	s_cbranch_vccnz .LBB18_21
; %bb.26:
	v_mul_lo_u32 v1, s11, v4
	v_mul_lo_u32 v3, s10, v5
	v_mad_u64_u32 v[4:5], s[2:3], s10, v4, 0
	v_add3_u32 v5, v5, v3, v1
	v_lshl_add_u64 v[4:5], v[4:5], 2, s[8:9]
	v_mov_b32_e32 v3, 0
	v_lshl_add_u64 v[2:3], v[4:5], 0, v[2:3]
	v_lshl_add_u64 v[2:3], s[0:1], 2, v[2:3]
	global_store_dword v[2:3], v0, off
	s_endpgm
	.section	.rodata,"a",@progbits
	.p2align	6, 0x0
	.amdhsa_kernel _ZN9rocsparse31csrmmnn_row_split_shared_kernelILj256ELj8EfiiaafEEvNS_24const_host_device_scalarIT1_EES3_bbbT3_S4_llPKT2_PKS4_PKT4_PKT5_llPT6_ll16rocsparse_order_21rocsparse_index_base_
		.amdhsa_group_segment_fixed_size 2048
		.amdhsa_private_segment_fixed_size 0
		.amdhsa_kernarg_size 128
		.amdhsa_user_sgpr_count 2
		.amdhsa_user_sgpr_dispatch_ptr 0
		.amdhsa_user_sgpr_queue_ptr 0
		.amdhsa_user_sgpr_kernarg_segment_ptr 1
		.amdhsa_user_sgpr_dispatch_id 0
		.amdhsa_user_sgpr_kernarg_preload_length 0
		.amdhsa_user_sgpr_kernarg_preload_offset 0
		.amdhsa_user_sgpr_private_segment_size 0
		.amdhsa_uses_dynamic_stack 0
		.amdhsa_enable_private_segment 0
		.amdhsa_system_sgpr_workgroup_id_x 1
		.amdhsa_system_sgpr_workgroup_id_y 1
		.amdhsa_system_sgpr_workgroup_id_z 1
		.amdhsa_system_sgpr_workgroup_info 0
		.amdhsa_system_vgpr_workitem_id 0
		.amdhsa_next_free_vgpr 37
		.amdhsa_next_free_sgpr 32
		.amdhsa_accum_offset 40
		.amdhsa_reserve_vcc 1
		.amdhsa_float_round_mode_32 0
		.amdhsa_float_round_mode_16_64 0
		.amdhsa_float_denorm_mode_32 3
		.amdhsa_float_denorm_mode_16_64 3
		.amdhsa_dx10_clamp 1
		.amdhsa_ieee_mode 1
		.amdhsa_fp16_overflow 0
		.amdhsa_tg_split 0
		.amdhsa_exception_fp_ieee_invalid_op 0
		.amdhsa_exception_fp_denorm_src 0
		.amdhsa_exception_fp_ieee_div_zero 0
		.amdhsa_exception_fp_ieee_overflow 0
		.amdhsa_exception_fp_ieee_underflow 0
		.amdhsa_exception_fp_ieee_inexact 0
		.amdhsa_exception_int_div_zero 0
	.end_amdhsa_kernel
	.section	.text._ZN9rocsparse31csrmmnn_row_split_shared_kernelILj256ELj8EfiiaafEEvNS_24const_host_device_scalarIT1_EES3_bbbT3_S4_llPKT2_PKS4_PKT4_PKT5_llPT6_ll16rocsparse_order_21rocsparse_index_base_,"axG",@progbits,_ZN9rocsparse31csrmmnn_row_split_shared_kernelILj256ELj8EfiiaafEEvNS_24const_host_device_scalarIT1_EES3_bbbT3_S4_llPKT2_PKS4_PKT4_PKT5_llPT6_ll16rocsparse_order_21rocsparse_index_base_,comdat
.Lfunc_end18:
	.size	_ZN9rocsparse31csrmmnn_row_split_shared_kernelILj256ELj8EfiiaafEEvNS_24const_host_device_scalarIT1_EES3_bbbT3_S4_llPKT2_PKS4_PKT4_PKT5_llPT6_ll16rocsparse_order_21rocsparse_index_base_, .Lfunc_end18-_ZN9rocsparse31csrmmnn_row_split_shared_kernelILj256ELj8EfiiaafEEvNS_24const_host_device_scalarIT1_EES3_bbbT3_S4_llPKT2_PKS4_PKT4_PKT5_llPT6_ll16rocsparse_order_21rocsparse_index_base_
                                        ; -- End function
	.set _ZN9rocsparse31csrmmnn_row_split_shared_kernelILj256ELj8EfiiaafEEvNS_24const_host_device_scalarIT1_EES3_bbbT3_S4_llPKT2_PKS4_PKT4_PKT5_llPT6_ll16rocsparse_order_21rocsparse_index_base_.num_vgpr, 37
	.set _ZN9rocsparse31csrmmnn_row_split_shared_kernelILj256ELj8EfiiaafEEvNS_24const_host_device_scalarIT1_EES3_bbbT3_S4_llPKT2_PKS4_PKT4_PKT5_llPT6_ll16rocsparse_order_21rocsparse_index_base_.num_agpr, 0
	.set _ZN9rocsparse31csrmmnn_row_split_shared_kernelILj256ELj8EfiiaafEEvNS_24const_host_device_scalarIT1_EES3_bbbT3_S4_llPKT2_PKS4_PKT4_PKT5_llPT6_ll16rocsparse_order_21rocsparse_index_base_.numbered_sgpr, 32
	.set _ZN9rocsparse31csrmmnn_row_split_shared_kernelILj256ELj8EfiiaafEEvNS_24const_host_device_scalarIT1_EES3_bbbT3_S4_llPKT2_PKS4_PKT4_PKT5_llPT6_ll16rocsparse_order_21rocsparse_index_base_.num_named_barrier, 0
	.set _ZN9rocsparse31csrmmnn_row_split_shared_kernelILj256ELj8EfiiaafEEvNS_24const_host_device_scalarIT1_EES3_bbbT3_S4_llPKT2_PKS4_PKT4_PKT5_llPT6_ll16rocsparse_order_21rocsparse_index_base_.private_seg_size, 0
	.set _ZN9rocsparse31csrmmnn_row_split_shared_kernelILj256ELj8EfiiaafEEvNS_24const_host_device_scalarIT1_EES3_bbbT3_S4_llPKT2_PKS4_PKT4_PKT5_llPT6_ll16rocsparse_order_21rocsparse_index_base_.uses_vcc, 1
	.set _ZN9rocsparse31csrmmnn_row_split_shared_kernelILj256ELj8EfiiaafEEvNS_24const_host_device_scalarIT1_EES3_bbbT3_S4_llPKT2_PKS4_PKT4_PKT5_llPT6_ll16rocsparse_order_21rocsparse_index_base_.uses_flat_scratch, 0
	.set _ZN9rocsparse31csrmmnn_row_split_shared_kernelILj256ELj8EfiiaafEEvNS_24const_host_device_scalarIT1_EES3_bbbT3_S4_llPKT2_PKS4_PKT4_PKT5_llPT6_ll16rocsparse_order_21rocsparse_index_base_.has_dyn_sized_stack, 0
	.set _ZN9rocsparse31csrmmnn_row_split_shared_kernelILj256ELj8EfiiaafEEvNS_24const_host_device_scalarIT1_EES3_bbbT3_S4_llPKT2_PKS4_PKT4_PKT5_llPT6_ll16rocsparse_order_21rocsparse_index_base_.has_recursion, 0
	.set _ZN9rocsparse31csrmmnn_row_split_shared_kernelILj256ELj8EfiiaafEEvNS_24const_host_device_scalarIT1_EES3_bbbT3_S4_llPKT2_PKS4_PKT4_PKT5_llPT6_ll16rocsparse_order_21rocsparse_index_base_.has_indirect_call, 0
	.section	.AMDGPU.csdata,"",@progbits
; Kernel info:
; codeLenInByte = 1316
; TotalNumSgprs: 38
; NumVgprs: 37
; NumAgprs: 0
; TotalNumVgprs: 37
; ScratchSize: 0
; MemoryBound: 0
; FloatMode: 240
; IeeeMode: 1
; LDSByteSize: 2048 bytes/workgroup (compile time only)
; SGPRBlocks: 4
; VGPRBlocks: 4
; NumSGPRsForWavesPerEU: 38
; NumVGPRsForWavesPerEU: 37
; AccumOffset: 40
; Occupancy: 8
; WaveLimiterHint : 1
; COMPUTE_PGM_RSRC2:SCRATCH_EN: 0
; COMPUTE_PGM_RSRC2:USER_SGPR: 2
; COMPUTE_PGM_RSRC2:TRAP_HANDLER: 0
; COMPUTE_PGM_RSRC2:TGID_X_EN: 1
; COMPUTE_PGM_RSRC2:TGID_Y_EN: 1
; COMPUTE_PGM_RSRC2:TGID_Z_EN: 1
; COMPUTE_PGM_RSRC2:TIDIG_COMP_CNT: 0
; COMPUTE_PGM_RSRC3_GFX90A:ACCUM_OFFSET: 9
; COMPUTE_PGM_RSRC3_GFX90A:TG_SPLIT: 0
	.section	.text._ZN9rocsparse31csrmmnn_row_split_shared_kernelILj256ELj8EfliaafEEvNS_24const_host_device_scalarIT1_EES3_bbbT3_S4_llPKT2_PKS4_PKT4_PKT5_llPT6_ll16rocsparse_order_21rocsparse_index_base_,"axG",@progbits,_ZN9rocsparse31csrmmnn_row_split_shared_kernelILj256ELj8EfliaafEEvNS_24const_host_device_scalarIT1_EES3_bbbT3_S4_llPKT2_PKS4_PKT4_PKT5_llPT6_ll16rocsparse_order_21rocsparse_index_base_,comdat
	.protected	_ZN9rocsparse31csrmmnn_row_split_shared_kernelILj256ELj8EfliaafEEvNS_24const_host_device_scalarIT1_EES3_bbbT3_S4_llPKT2_PKS4_PKT4_PKT5_llPT6_ll16rocsparse_order_21rocsparse_index_base_ ; -- Begin function _ZN9rocsparse31csrmmnn_row_split_shared_kernelILj256ELj8EfliaafEEvNS_24const_host_device_scalarIT1_EES3_bbbT3_S4_llPKT2_PKS4_PKT4_PKT5_llPT6_ll16rocsparse_order_21rocsparse_index_base_
	.globl	_ZN9rocsparse31csrmmnn_row_split_shared_kernelILj256ELj8EfliaafEEvNS_24const_host_device_scalarIT1_EES3_bbbT3_S4_llPKT2_PKS4_PKT4_PKT5_llPT6_ll16rocsparse_order_21rocsparse_index_base_
	.p2align	8
	.type	_ZN9rocsparse31csrmmnn_row_split_shared_kernelILj256ELj8EfliaafEEvNS_24const_host_device_scalarIT1_EES3_bbbT3_S4_llPKT2_PKS4_PKT4_PKT5_llPT6_ll16rocsparse_order_21rocsparse_index_base_,@function
_ZN9rocsparse31csrmmnn_row_split_shared_kernelILj256ELj8EfliaafEEvNS_24const_host_device_scalarIT1_EES3_bbbT3_S4_llPKT2_PKS4_PKT4_PKT5_llPT6_ll16rocsparse_order_21rocsparse_index_base_: ; @_ZN9rocsparse31csrmmnn_row_split_shared_kernelILj256ELj8EfliaafEEvNS_24const_host_device_scalarIT1_EES3_bbbT3_S4_llPKT2_PKS4_PKT4_PKT5_llPT6_ll16rocsparse_order_21rocsparse_index_base_
; %bb.0:
	s_load_dwordx8 s[24:31], s[0:1], 0x0
	s_waitcnt lgkmcnt(0)
	s_bitcmp1_b32 s28, 0
	s_cselect_b64 s[8:9], -1, 0
	s_xor_b64 s[6:7], s[8:9], -1
	s_and_b64 vcc, exec, s[8:9]
	s_cbranch_vccnz .LBB19_2
; %bb.1:
	s_load_dword s24, s[24:25], 0x0
.LBB19_2:
	s_andn2_b64 vcc, exec, s[6:7]
	s_cbranch_vccnz .LBB19_4
; %bb.3:
	s_load_dword s26, s[26:27], 0x0
.LBB19_4:
	s_waitcnt lgkmcnt(0)
	v_cmp_eq_f32_e64 s[6:7], s24, 0
	v_cmp_eq_f32_e64 s[8:9], s26, 1.0
	s_and_b64 s[6:7], s[6:7], s[8:9]
	s_and_b64 vcc, exec, s[6:7]
	s_cbranch_vccnz .LBB19_21
; %bb.5:
	v_lshl_or_b32 v1, s2, 8, v0
	v_lshrrev_b32_e32 v14, 3, v1
	v_cmp_gt_i32_e32 vcc, s29, v14
	s_and_saveexec_b64 s[6:7], vcc
	s_cbranch_execz .LBB19_21
; %bb.6:
	s_load_dwordx16 s[8:23], s[0:1], 0x20
	s_ashr_i32 s5, s4, 31
	v_lshlrev_b32_e32 v1, 3, v14
	v_and_b32_e32 v8, 7, v0
	v_lshl_or_b32 v6, s3, 3, v8
	s_waitcnt lgkmcnt(0)
	s_mul_hi_u32 s2, s8, s4
	s_mul_i32 s7, s8, s5
	s_mul_i32 s9, s9, s4
	s_add_i32 s2, s2, s7
	s_mul_i32 s6, s8, s4
	s_add_i32 s7, s2, s9
	s_lshl_b64 s[6:7], s[6:7], 3
	s_add_u32 s6, s12, s6
	s_addc_u32 s7, s13, s7
	global_load_dwordx4 v[2:5], v1, s[6:7]
	s_load_dwordx2 s[6:7], s[0:1], 0x78
	v_ashrrev_i32_e32 v7, 31, v6
	v_mov_b32_e32 v19, 0
	s_waitcnt vmcnt(0)
	v_cmp_lt_i64_e32 vcc, v[2:3], v[4:5]
	s_and_saveexec_b64 s[8:9], vcc
	s_cbranch_execz .LBB19_14
; %bb.7:
	v_lshlrev_b32_e32 v0, 2, v0
	v_and_b32_e32 v15, 0x3e0, v0
	s_mul_i32 s3, s11, s4
	s_mul_i32 s11, s10, s5
	v_mov_b32_e32 v20, s18
	v_mov_b32_e32 v21, s19
	v_lshlrev_b32_e32 v0, 2, v8
	v_or_b32_e32 v17, 0x400, v15
	s_mul_hi_u32 s2, s10, s4
	s_add_i32 s11, s11, s3
	v_or_b32_e32 v16, v15, v0
	v_or_b32_e32 v18, v17, v0
	s_add_i32 s12, s11, s2
	v_mul_lo_u32 v19, s20, v7
	v_mul_lo_u32 v22, s21, v6
	v_mad_u64_u32 v[0:1], s[2:3], s20, v6, v[20:21]
	v_add3_u32 v1, v22, v1, v19
	v_mov_b32_e32 v19, s4
	s_waitcnt lgkmcnt(0)
	v_subrev_co_u32_e32 v4, vcc, s7, v4
	v_mad_u64_u32 v[0:1], s[2:3], s22, v19, v[0:1]
	s_nop 0
	v_subbrev_co_u32_e32 v5, vcc, 0, v5, vcc
	s_mul_i32 s2, s23, s4
	s_mul_i32 s3, s22, s5
	v_subrev_co_u32_e32 v10, vcc, s7, v2
	s_add_i32 s3, s3, s2
	s_nop 0
	v_subbrev_co_u32_e32 v11, vcc, 0, v3, vcc
	v_add_u32_e32 v1, s3, v1
	v_mad_u64_u32 v[2:3], s[2:3], s10, v19, v[2:3]
	v_mov_b32_e32 v9, 0
	v_add_u32_e32 v3, s11, v3
	v_lshl_add_u64 v[2:3], v[2:3], 0, v[8:9]
	v_subrev_co_u32_e64 v2, s[2:3], s7, v2
	s_mul_i32 s13, s10, s4
	s_nop 0
	v_subbrev_co_u32_e64 v3, s[2:3], 0, v3, s[2:3]
	s_add_u32 s2, s16, s13
	v_mov_b32_e32 v12, s14
	v_mov_b32_e32 v13, s15
	s_addc_u32 s3, s17, s12
	v_cmp_gt_i32_e32 vcc, s30, v6
	v_lshl_add_u64 v[2:3], v[2:3], 2, v[12:13]
	v_lshl_add_u64 v[12:13], s[2:3], 0, v[8:9]
	s_mov_b64 s[10:11], 0
	v_mov_b32_e32 v19, v9
	s_branch .LBB19_9
.LBB19_8:                               ;   in Loop: Header=BB19_9 Depth=1
	s_or_b64 exec, exec, s[2:3]
	v_lshl_add_u64 v[10:11], v[10:11], 0, 8
	v_cmp_ge_i64_e64 s[2:3], v[10:11], v[4:5]
	s_or_b64 s[10:11], s[2:3], s[10:11]
	v_lshl_add_u64 v[2:3], v[2:3], 0, 32
	s_andn2_b64 exec, exec, s[10:11]
	s_cbranch_execz .LBB19_13
.LBB19_9:                               ; =>This Inner Loop Header: Depth=1
	v_lshl_add_u64 v[20:21], v[8:9], 0, v[10:11]
	v_cmp_lt_i64_e64 s[2:3], v[20:21], v[4:5]
	v_mov_b32_e32 v21, 0
	v_mov_b32_e32 v20, 0
	s_barrier
	s_and_saveexec_b64 s[12:13], s[2:3]
	s_cbranch_execz .LBB19_11
; %bb.10:                               ;   in Loop: Header=BB19_9 Depth=1
	v_lshl_add_u64 v[20:21], v[12:13], 0, v[10:11]
	global_load_sbyte v22, v[20:21], off
	global_load_dword v23, v[2:3], off
	s_waitcnt vmcnt(1)
	v_cvt_f32_i32_e32 v20, v22
	s_waitcnt vmcnt(0)
	v_subrev_u32_e32 v21, s7, v23
.LBB19_11:                              ;   in Loop: Header=BB19_9 Depth=1
	s_or_b64 exec, exec, s[12:13]
	ds_write_b32 v16, v21
	ds_write_b32 v18, v20
	s_waitcnt lgkmcnt(0)
	s_barrier
	s_and_saveexec_b64 s[2:3], vcc
	s_cbranch_execz .LBB19_8
; %bb.12:                               ;   in Loop: Header=BB19_9 Depth=1
	ds_read_b128 v[20:23], v15
	ds_read_b128 v[24:27], v15 offset:16
	s_waitcnt lgkmcnt(1)
	v_ashrrev_i32_e32 v29, 31, v20
	v_mov_b32_e32 v28, v20
	v_ashrrev_i32_e32 v31, 31, v21
	v_mov_b32_e32 v30, v21
	;; [unrolled: 2-line block ×3, first 2 shown]
	s_waitcnt lgkmcnt(0)
	v_ashrrev_i32_e32 v35, 31, v25
	v_mov_b32_e32 v34, v25
	v_lshl_add_u64 v[20:21], v[0:1], 0, v[28:29]
	v_lshl_add_u64 v[28:29], v[0:1], 0, v[30:31]
	v_ashrrev_i32_e32 v31, 31, v22
	v_mov_b32_e32 v30, v22
	v_lshl_add_u64 v[22:23], v[0:1], 0, v[32:33]
	v_ashrrev_i32_e32 v33, 31, v24
	v_mov_b32_e32 v32, v24
	;; [unrolled: 3-line block ×3, first 2 shown]
	v_lshl_add_u64 v[30:31], v[0:1], 0, v[30:31]
	v_lshl_add_u64 v[32:33], v[0:1], 0, v[32:33]
	;; [unrolled: 1-line block ×3, first 2 shown]
	global_load_sbyte v36, v[20:21], off
	global_load_sbyte v37, v[28:29], off
	;; [unrolled: 1-line block ×7, first 2 shown]
	v_ashrrev_i32_e32 v21, 31, v27
	v_mov_b32_e32 v20, v27
	v_lshl_add_u64 v[20:21], v[0:1], 0, v[20:21]
	global_load_sbyte v28, v[20:21], off
	ds_read_b128 v[20:23], v17
	ds_read_b128 v[24:27], v17 offset:16
	s_waitcnt vmcnt(7)
	v_cvt_f32_i32_e32 v29, v36
	s_waitcnt vmcnt(6)
	v_cvt_f32_i32_e32 v30, v37
	;; [unrolled: 2-line block ×5, first 2 shown]
	s_waitcnt lgkmcnt(1)
	v_fmac_f32_e32 v19, v20, v29
	s_waitcnt vmcnt(2)
	v_cvt_f32_i32_e32 v34, v41
	v_fmac_f32_e32 v19, v21, v30
	s_waitcnt vmcnt(1)
	v_cvt_f32_i32_e32 v35, v42
	v_fmac_f32_e32 v19, v22, v31
	v_fmac_f32_e32 v19, v23, v32
	s_waitcnt vmcnt(0)
	v_cvt_f32_i32_e32 v20, v28
	s_waitcnt lgkmcnt(0)
	v_fmac_f32_e32 v19, v24, v33
	v_fmac_f32_e32 v19, v25, v34
	;; [unrolled: 1-line block ×4, first 2 shown]
	s_branch .LBB19_8
.LBB19_13:
	s_or_b64 exec, exec, s[10:11]
.LBB19_14:
	s_or_b64 exec, exec, s[8:9]
	v_cmp_gt_i32_e32 vcc, s30, v6
	s_and_b64 exec, exec, vcc
	s_cbranch_execz .LBB19_21
; %bb.15:
	s_load_dwordx4 s[8:11], s[0:1], 0x60
	s_load_dwordx2 s[14:15], s[0:1], 0x70
	v_cmp_neq_f32_e64 s[0:1], s26, 0
	s_waitcnt lgkmcnt(0)
	s_cmp_lg_u32 s6, 1
	s_cselect_b64 s[2:3], -1, 0
	s_and_b64 vcc, exec, s[0:1]
	v_mul_f32_e32 v0, s24, v19
	s_mul_i32 s6, s14, s5
	s_mul_hi_u32 s7, s14, s4
	s_mul_i32 s12, s15, s4
	s_mul_i32 s0, s14, s4
	s_cbranch_vccz .LBB19_22
; %bb.16:
	s_add_i32 s1, s7, s6
	s_add_i32 s1, s1, s12
	s_mov_b64 s[4:5], -1
	s_and_b64 vcc, exec, s[2:3]
	s_cbranch_vccz .LBB19_18
; %bb.17:
	v_mad_u64_u32 v[2:3], s[4:5], s10, v14, 0
	v_mov_b32_e32 v4, v3
	v_mad_u64_u32 v[4:5], s[4:5], s11, v14, v[4:5]
	v_mov_b32_e32 v3, v4
	v_lshl_add_u64 v[2:3], v[2:3], 2, s[8:9]
	v_lshl_add_u64 v[2:3], v[6:7], 2, v[2:3]
	;; [unrolled: 1-line block ×3, first 2 shown]
	global_load_dword v1, v[2:3], off
	s_mov_b64 s[4:5], 0
	s_waitcnt vmcnt(0)
	v_fma_f32 v1, s26, v1, v0
	global_store_dword v[2:3], v1, off
.LBB19_18:
	s_andn2_b64 vcc, exec, s[4:5]
	s_cbranch_vccnz .LBB19_20
; %bb.19:
	v_mul_lo_u32 v1, s11, v6
	v_mul_lo_u32 v4, s10, v7
	v_mad_u64_u32 v[2:3], s[4:5], s10, v6, 0
	v_add3_u32 v3, v3, v4, v1
	v_lshl_add_u64 v[2:3], v[2:3], 2, s[8:9]
	v_lshlrev_b32_e32 v4, 2, v14
	v_mov_b32_e32 v5, 0
	v_lshl_add_u64 v[2:3], v[2:3], 0, v[4:5]
	v_lshl_add_u64 v[2:3], s[0:1], 2, v[2:3]
	global_load_dword v1, v[2:3], off
	s_waitcnt vmcnt(0)
	v_fma_f32 v1, s26, v1, v0
	global_store_dword v[2:3], v1, off
.LBB19_20:
	s_cbranch_execz .LBB19_23
.LBB19_21:
	s_endpgm
.LBB19_22:
.LBB19_23:
	s_add_i32 s1, s7, s6
	s_add_i32 s1, s1, s12
	s_mov_b64 s[4:5], -1
	s_and_b64 vcc, exec, s[2:3]
	s_cbranch_vccz .LBB19_25
; %bb.24:
	v_mad_u64_u32 v[2:3], s[2:3], s10, v14, 0
	v_mov_b32_e32 v4, v3
	v_mad_u64_u32 v[4:5], s[2:3], s11, v14, v[4:5]
	v_mov_b32_e32 v3, v4
	v_lshl_add_u64 v[2:3], v[2:3], 2, s[8:9]
	v_lshl_add_u64 v[2:3], v[6:7], 2, v[2:3]
	;; [unrolled: 1-line block ×3, first 2 shown]
	global_store_dword v[2:3], v0, off
	s_mov_b64 s[4:5], 0
.LBB19_25:
	s_andn2_b64 vcc, exec, s[4:5]
	s_cbranch_vccnz .LBB19_21
; %bb.26:
	v_mul_lo_u32 v1, s11, v6
	v_mul_lo_u32 v4, s10, v7
	v_mad_u64_u32 v[2:3], s[2:3], s10, v6, 0
	v_add3_u32 v3, v3, v4, v1
	v_lshl_add_u64 v[2:3], v[2:3], 2, s[8:9]
	v_lshlrev_b32_e32 v4, 2, v14
	v_mov_b32_e32 v5, 0
	v_lshl_add_u64 v[2:3], v[2:3], 0, v[4:5]
	v_lshl_add_u64 v[2:3], s[0:1], 2, v[2:3]
	global_store_dword v[2:3], v0, off
	s_endpgm
	.section	.rodata,"a",@progbits
	.p2align	6, 0x0
	.amdhsa_kernel _ZN9rocsparse31csrmmnn_row_split_shared_kernelILj256ELj8EfliaafEEvNS_24const_host_device_scalarIT1_EES3_bbbT3_S4_llPKT2_PKS4_PKT4_PKT5_llPT6_ll16rocsparse_order_21rocsparse_index_base_
		.amdhsa_group_segment_fixed_size 2048
		.amdhsa_private_segment_fixed_size 0
		.amdhsa_kernarg_size 128
		.amdhsa_user_sgpr_count 2
		.amdhsa_user_sgpr_dispatch_ptr 0
		.amdhsa_user_sgpr_queue_ptr 0
		.amdhsa_user_sgpr_kernarg_segment_ptr 1
		.amdhsa_user_sgpr_dispatch_id 0
		.amdhsa_user_sgpr_kernarg_preload_length 0
		.amdhsa_user_sgpr_kernarg_preload_offset 0
		.amdhsa_user_sgpr_private_segment_size 0
		.amdhsa_uses_dynamic_stack 0
		.amdhsa_enable_private_segment 0
		.amdhsa_system_sgpr_workgroup_id_x 1
		.amdhsa_system_sgpr_workgroup_id_y 1
		.amdhsa_system_sgpr_workgroup_id_z 1
		.amdhsa_system_sgpr_workgroup_info 0
		.amdhsa_system_vgpr_workitem_id 0
		.amdhsa_next_free_vgpr 43
		.amdhsa_next_free_sgpr 32
		.amdhsa_accum_offset 44
		.amdhsa_reserve_vcc 1
		.amdhsa_float_round_mode_32 0
		.amdhsa_float_round_mode_16_64 0
		.amdhsa_float_denorm_mode_32 3
		.amdhsa_float_denorm_mode_16_64 3
		.amdhsa_dx10_clamp 1
		.amdhsa_ieee_mode 1
		.amdhsa_fp16_overflow 0
		.amdhsa_tg_split 0
		.amdhsa_exception_fp_ieee_invalid_op 0
		.amdhsa_exception_fp_denorm_src 0
		.amdhsa_exception_fp_ieee_div_zero 0
		.amdhsa_exception_fp_ieee_overflow 0
		.amdhsa_exception_fp_ieee_underflow 0
		.amdhsa_exception_fp_ieee_inexact 0
		.amdhsa_exception_int_div_zero 0
	.end_amdhsa_kernel
	.section	.text._ZN9rocsparse31csrmmnn_row_split_shared_kernelILj256ELj8EfliaafEEvNS_24const_host_device_scalarIT1_EES3_bbbT3_S4_llPKT2_PKS4_PKT4_PKT5_llPT6_ll16rocsparse_order_21rocsparse_index_base_,"axG",@progbits,_ZN9rocsparse31csrmmnn_row_split_shared_kernelILj256ELj8EfliaafEEvNS_24const_host_device_scalarIT1_EES3_bbbT3_S4_llPKT2_PKS4_PKT4_PKT5_llPT6_ll16rocsparse_order_21rocsparse_index_base_,comdat
.Lfunc_end19:
	.size	_ZN9rocsparse31csrmmnn_row_split_shared_kernelILj256ELj8EfliaafEEvNS_24const_host_device_scalarIT1_EES3_bbbT3_S4_llPKT2_PKS4_PKT4_PKT5_llPT6_ll16rocsparse_order_21rocsparse_index_base_, .Lfunc_end19-_ZN9rocsparse31csrmmnn_row_split_shared_kernelILj256ELj8EfliaafEEvNS_24const_host_device_scalarIT1_EES3_bbbT3_S4_llPKT2_PKS4_PKT4_PKT5_llPT6_ll16rocsparse_order_21rocsparse_index_base_
                                        ; -- End function
	.set _ZN9rocsparse31csrmmnn_row_split_shared_kernelILj256ELj8EfliaafEEvNS_24const_host_device_scalarIT1_EES3_bbbT3_S4_llPKT2_PKS4_PKT4_PKT5_llPT6_ll16rocsparse_order_21rocsparse_index_base_.num_vgpr, 43
	.set _ZN9rocsparse31csrmmnn_row_split_shared_kernelILj256ELj8EfliaafEEvNS_24const_host_device_scalarIT1_EES3_bbbT3_S4_llPKT2_PKS4_PKT4_PKT5_llPT6_ll16rocsparse_order_21rocsparse_index_base_.num_agpr, 0
	.set _ZN9rocsparse31csrmmnn_row_split_shared_kernelILj256ELj8EfliaafEEvNS_24const_host_device_scalarIT1_EES3_bbbT3_S4_llPKT2_PKS4_PKT4_PKT5_llPT6_ll16rocsparse_order_21rocsparse_index_base_.numbered_sgpr, 32
	.set _ZN9rocsparse31csrmmnn_row_split_shared_kernelILj256ELj8EfliaafEEvNS_24const_host_device_scalarIT1_EES3_bbbT3_S4_llPKT2_PKS4_PKT4_PKT5_llPT6_ll16rocsparse_order_21rocsparse_index_base_.num_named_barrier, 0
	.set _ZN9rocsparse31csrmmnn_row_split_shared_kernelILj256ELj8EfliaafEEvNS_24const_host_device_scalarIT1_EES3_bbbT3_S4_llPKT2_PKS4_PKT4_PKT5_llPT6_ll16rocsparse_order_21rocsparse_index_base_.private_seg_size, 0
	.set _ZN9rocsparse31csrmmnn_row_split_shared_kernelILj256ELj8EfliaafEEvNS_24const_host_device_scalarIT1_EES3_bbbT3_S4_llPKT2_PKS4_PKT4_PKT5_llPT6_ll16rocsparse_order_21rocsparse_index_base_.uses_vcc, 1
	.set _ZN9rocsparse31csrmmnn_row_split_shared_kernelILj256ELj8EfliaafEEvNS_24const_host_device_scalarIT1_EES3_bbbT3_S4_llPKT2_PKS4_PKT4_PKT5_llPT6_ll16rocsparse_order_21rocsparse_index_base_.uses_flat_scratch, 0
	.set _ZN9rocsparse31csrmmnn_row_split_shared_kernelILj256ELj8EfliaafEEvNS_24const_host_device_scalarIT1_EES3_bbbT3_S4_llPKT2_PKS4_PKT4_PKT5_llPT6_ll16rocsparse_order_21rocsparse_index_base_.has_dyn_sized_stack, 0
	.set _ZN9rocsparse31csrmmnn_row_split_shared_kernelILj256ELj8EfliaafEEvNS_24const_host_device_scalarIT1_EES3_bbbT3_S4_llPKT2_PKS4_PKT4_PKT5_llPT6_ll16rocsparse_order_21rocsparse_index_base_.has_recursion, 0
	.set _ZN9rocsparse31csrmmnn_row_split_shared_kernelILj256ELj8EfliaafEEvNS_24const_host_device_scalarIT1_EES3_bbbT3_S4_llPKT2_PKS4_PKT4_PKT5_llPT6_ll16rocsparse_order_21rocsparse_index_base_.has_indirect_call, 0
	.section	.AMDGPU.csdata,"",@progbits
; Kernel info:
; codeLenInByte = 1412
; TotalNumSgprs: 38
; NumVgprs: 43
; NumAgprs: 0
; TotalNumVgprs: 43
; ScratchSize: 0
; MemoryBound: 0
; FloatMode: 240
; IeeeMode: 1
; LDSByteSize: 2048 bytes/workgroup (compile time only)
; SGPRBlocks: 4
; VGPRBlocks: 5
; NumSGPRsForWavesPerEU: 38
; NumVGPRsForWavesPerEU: 43
; AccumOffset: 44
; Occupancy: 8
; WaveLimiterHint : 1
; COMPUTE_PGM_RSRC2:SCRATCH_EN: 0
; COMPUTE_PGM_RSRC2:USER_SGPR: 2
; COMPUTE_PGM_RSRC2:TRAP_HANDLER: 0
; COMPUTE_PGM_RSRC2:TGID_X_EN: 1
; COMPUTE_PGM_RSRC2:TGID_Y_EN: 1
; COMPUTE_PGM_RSRC2:TGID_Z_EN: 1
; COMPUTE_PGM_RSRC2:TIDIG_COMP_CNT: 0
; COMPUTE_PGM_RSRC3_GFX90A:ACCUM_OFFSET: 10
; COMPUTE_PGM_RSRC3_GFX90A:TG_SPLIT: 0
	.section	.text._ZN9rocsparse31csrmmnn_row_split_shared_kernelILj256ELj8EfllaafEEvNS_24const_host_device_scalarIT1_EES3_bbbT3_S4_llPKT2_PKS4_PKT4_PKT5_llPT6_ll16rocsparse_order_21rocsparse_index_base_,"axG",@progbits,_ZN9rocsparse31csrmmnn_row_split_shared_kernelILj256ELj8EfllaafEEvNS_24const_host_device_scalarIT1_EES3_bbbT3_S4_llPKT2_PKS4_PKT4_PKT5_llPT6_ll16rocsparse_order_21rocsparse_index_base_,comdat
	.protected	_ZN9rocsparse31csrmmnn_row_split_shared_kernelILj256ELj8EfllaafEEvNS_24const_host_device_scalarIT1_EES3_bbbT3_S4_llPKT2_PKS4_PKT4_PKT5_llPT6_ll16rocsparse_order_21rocsparse_index_base_ ; -- Begin function _ZN9rocsparse31csrmmnn_row_split_shared_kernelILj256ELj8EfllaafEEvNS_24const_host_device_scalarIT1_EES3_bbbT3_S4_llPKT2_PKS4_PKT4_PKT5_llPT6_ll16rocsparse_order_21rocsparse_index_base_
	.globl	_ZN9rocsparse31csrmmnn_row_split_shared_kernelILj256ELj8EfllaafEEvNS_24const_host_device_scalarIT1_EES3_bbbT3_S4_llPKT2_PKS4_PKT4_PKT5_llPT6_ll16rocsparse_order_21rocsparse_index_base_
	.p2align	8
	.type	_ZN9rocsparse31csrmmnn_row_split_shared_kernelILj256ELj8EfllaafEEvNS_24const_host_device_scalarIT1_EES3_bbbT3_S4_llPKT2_PKS4_PKT4_PKT5_llPT6_ll16rocsparse_order_21rocsparse_index_base_,@function
_ZN9rocsparse31csrmmnn_row_split_shared_kernelILj256ELj8EfllaafEEvNS_24const_host_device_scalarIT1_EES3_bbbT3_S4_llPKT2_PKS4_PKT4_PKT5_llPT6_ll16rocsparse_order_21rocsparse_index_base_: ; @_ZN9rocsparse31csrmmnn_row_split_shared_kernelILj256ELj8EfllaafEEvNS_24const_host_device_scalarIT1_EES3_bbbT3_S4_llPKT2_PKS4_PKT4_PKT5_llPT6_ll16rocsparse_order_21rocsparse_index_base_
; %bb.0:
	s_load_dword s5, s[0:1], 0x10
	s_load_dwordx4 s[36:39], s[0:1], 0x0
	s_waitcnt lgkmcnt(0)
	s_bitcmp1_b32 s5, 0
	s_cselect_b64 s[8:9], -1, 0
	s_xor_b64 s[6:7], s[8:9], -1
	s_and_b64 vcc, exec, s[8:9]
	s_cbranch_vccnz .LBB20_2
; %bb.1:
	s_load_dword s36, s[36:37], 0x0
.LBB20_2:
	s_andn2_b64 vcc, exec, s[6:7]
	s_cbranch_vccnz .LBB20_4
; %bb.3:
	s_load_dword s38, s[38:39], 0x0
.LBB20_4:
	s_waitcnt lgkmcnt(0)
	v_cmp_eq_f32_e64 s[6:7], s36, 0
	v_cmp_eq_f32_e64 s[8:9], s38, 1.0
	s_and_b64 s[6:7], s[6:7], s[8:9]
	s_and_b64 vcc, exec, s[6:7]
	s_cbranch_vccnz .LBB20_21
; %bb.5:
	s_load_dwordx16 s[8:23], s[0:1], 0x18
	v_lshl_or_b32 v1, s2, 8, v0
	v_lshrrev_b32_e32 v6, 3, v1
	v_mov_b32_e32 v7, 0
	s_waitcnt lgkmcnt(0)
	v_cmp_gt_i64_e32 vcc, s[8:9], v[6:7]
	s_and_saveexec_b64 s[6:7], vcc
	s_cbranch_execz .LBB20_21
; %bb.6:
	s_mul_i32 s2, s13, s4
	s_mul_hi_u32 s5, s12, s4
	s_add_i32 s7, s5, s2
	s_mul_i32 s6, s12, s4
	s_lshl_b64 s[6:7], s[6:7], 3
	s_add_u32 s6, s16, s6
	s_addc_u32 s7, s17, s7
	v_lshlrev_b32_e32 v1, 3, v6
	global_load_dwordx4 v[2:5], v1, s[6:7]
	s_load_dwordx8 s[24:31], s[0:1], 0x58
	s_load_dwordx4 s[40:43], s[0:1], 0x78
	v_and_b32_e32 v10, 7, v0
	v_lshl_or_b32 v8, s3, 3, v10
	v_mov_b32_e32 v9, v7
	s_waitcnt vmcnt(0)
	v_cmp_lt_i64_e32 vcc, v[2:3], v[4:5]
	s_and_saveexec_b64 s[2:3], vcc
	s_cbranch_execz .LBB20_14
; %bb.7:
	v_mov_b32_e32 v12, s22
	v_mov_b32_e32 v13, s23
	s_mul_i32 s6, s15, s4
	s_mul_hi_u32 s0, s14, s4
	v_lshrrev_b32_e32 v7, 3, v0
	v_mov_b32_e32 v16, 0x800
	s_add_i32 s7, s0, s6
	s_waitcnt lgkmcnt(0)
	v_mad_u64_u32 v[12:13], s[0:1], s24, v8, v[12:13]
	v_lshl_or_b32 v20, v7, 5, v16
	v_mov_b32_e32 v16, v13
	v_mad_u64_u32 v[16:17], s[0:1], s25, v8, v[16:17]
	v_subrev_co_u32_e32 v4, vcc, s43, v4
	v_lshlrev_b32_e32 v18, 6, v7
	v_mov_b32_e32 v13, v16
	v_mov_b32_e32 v7, s4
	v_subbrev_co_u32_e32 v5, vcc, 0, v5, vcc
	v_mad_u64_u32 v[12:13], s[0:1], s26, v7, v[12:13]
	v_subrev_co_u32_e32 v0, vcc, s43, v2
	s_mul_i32 s0, s27, s4
	s_nop 0
	v_subbrev_co_u32_e32 v1, vcc, 0, v3, vcc
	v_add_u32_e32 v13, s0, v13
	v_mad_u64_u32 v[2:3], s[0:1], s14, v7, v[2:3]
	v_mov_b32_e32 v11, 0
	v_add_u32_e32 v3, s6, v3
	v_lshl_add_u64 v[2:3], v[2:3], 0, v[10:11]
	v_subrev_co_u32_e64 v2, s[0:1], s43, v2
	s_mul_i32 s8, s14, s4
	s_nop 0
	v_subbrev_co_u32_e64 v3, s[0:1], 0, v3, s[0:1]
	s_add_u32 s0, s20, s8
	v_mov_b32_e32 v14, s18
	v_mov_b32_e32 v15, s19
	s_addc_u32 s1, s21, s7
	s_mov_b32 s5, s43
	v_lshl_or_b32 v19, v10, 3, v18
	v_lshl_or_b32 v21, v10, 2, v20
	v_cmp_gt_i64_e32 vcc, s[10:11], v[8:9]
	v_lshl_add_u64 v[2:3], v[2:3], 3, v[14:15]
	v_lshl_add_u64 v[14:15], s[0:1], 0, v[10:11]
	s_mov_b64 s[6:7], 0
	v_mov_b32_e32 v7, v11
	s_branch .LBB20_9
.LBB20_8:                               ;   in Loop: Header=BB20_9 Depth=1
	s_or_b64 exec, exec, s[0:1]
	v_lshl_add_u64 v[0:1], v[0:1], 0, 8
	v_cmp_ge_i64_e64 s[0:1], v[0:1], v[4:5]
	s_or_b64 s[6:7], s[0:1], s[6:7]
	v_lshl_add_u64 v[2:3], v[2:3], 0, 64
	s_andn2_b64 exec, exec, s[6:7]
	s_cbranch_execz .LBB20_13
.LBB20_9:                               ; =>This Inner Loop Header: Depth=1
	v_lshl_add_u64 v[16:17], v[10:11], 0, v[0:1]
	v_cmp_lt_i64_e64 s[0:1], v[16:17], v[4:5]
	v_mov_b64_e32 v[16:17], 0
	v_mov_b32_e32 v22, 0
	s_barrier
	s_and_saveexec_b64 s[8:9], s[0:1]
	s_cbranch_execz .LBB20_11
; %bb.10:                               ;   in Loop: Header=BB20_9 Depth=1
	v_lshl_add_u64 v[16:17], v[14:15], 0, v[0:1]
	global_load_sbyte v22, v[16:17], off
	global_load_dwordx2 v[24:25], v[2:3], off
	s_waitcnt vmcnt(1)
	v_cvt_f32_i32_e32 v22, v22
	s_waitcnt vmcnt(0)
	v_subrev_co_u32_e64 v16, s[0:1], s5, v24
	s_nop 1
	v_subbrev_co_u32_e64 v17, s[0:1], 0, v25, s[0:1]
.LBB20_11:                              ;   in Loop: Header=BB20_9 Depth=1
	s_or_b64 exec, exec, s[8:9]
	ds_write_b64 v19, v[16:17]
	ds_write_b32 v21, v22
	s_waitcnt lgkmcnt(0)
	s_barrier
	s_and_saveexec_b64 s[0:1], vcc
	s_cbranch_execz .LBB20_8
; %bb.12:                               ;   in Loop: Header=BB20_9 Depth=1
	ds_read_b128 v[22:25], v18
	ds_read_b128 v[26:29], v18 offset:16
	ds_read_b128 v[30:33], v18 offset:32
	;; [unrolled: 1-line block ×3, first 2 shown]
	s_waitcnt lgkmcnt(3)
	v_lshl_add_u64 v[16:17], v[12:13], 0, v[22:23]
	v_lshl_add_u64 v[22:23], v[12:13], 0, v[24:25]
	s_waitcnt lgkmcnt(2)
	v_lshl_add_u64 v[24:25], v[12:13], 0, v[26:27]
	v_lshl_add_u64 v[26:27], v[12:13], 0, v[28:29]
	;; [unrolled: 3-line block ×3, first 2 shown]
	s_waitcnt lgkmcnt(0)
	v_lshl_add_u64 v[32:33], v[12:13], 0, v[34:35]
	global_load_sbyte v34, v[16:17], off
	global_load_sbyte v35, v[22:23], off
	;; [unrolled: 1-line block ×7, first 2 shown]
	v_lshl_add_u64 v[16:17], v[12:13], 0, v[36:37]
	global_load_sbyte v16, v[16:17], off
	ds_read_b128 v[22:25], v20
	ds_read_b128 v[26:29], v20 offset:16
	s_waitcnt vmcnt(7)
	v_cvt_f32_i32_e32 v17, v34
	s_waitcnt vmcnt(6)
	v_cvt_f32_i32_e32 v30, v35
	;; [unrolled: 2-line block ×5, first 2 shown]
	s_waitcnt lgkmcnt(1)
	v_fmac_f32_e32 v7, v22, v17
	s_waitcnt vmcnt(2)
	v_cvt_f32_i32_e32 v34, v41
	v_fmac_f32_e32 v7, v23, v30
	s_waitcnt vmcnt(1)
	v_cvt_f32_i32_e32 v35, v42
	v_fmac_f32_e32 v7, v24, v31
	v_fmac_f32_e32 v7, v25, v32
	s_waitcnt vmcnt(0)
	v_cvt_f32_i32_e32 v16, v16
	s_waitcnt lgkmcnt(0)
	v_fmac_f32_e32 v7, v26, v33
	v_fmac_f32_e32 v7, v27, v34
	;; [unrolled: 1-line block ×4, first 2 shown]
	s_branch .LBB20_8
.LBB20_13:
	s_or_b64 exec, exec, s[6:7]
.LBB20_14:
	s_or_b64 exec, exec, s[2:3]
	v_cmp_gt_i64_e32 vcc, s[10:11], v[8:9]
	s_and_b64 exec, exec, vcc
	s_cbranch_execz .LBB20_21
; %bb.15:
	v_cmp_neq_f32_e64 s[0:1], s38, 0
	s_waitcnt lgkmcnt(0)
	s_cmp_lg_u32 s42, 1
	s_cselect_b64 s[2:3], -1, 0
	s_and_b64 vcc, exec, s[0:1]
	v_mul_f32_e32 v0, s36, v7
	s_mul_i32 s6, s41, s4
	s_mul_hi_u32 s7, s40, s4
	s_mul_i32 s0, s40, s4
	s_cbranch_vccz .LBB20_22
; %bb.16:
	s_add_i32 s1, s7, s6
	s_mov_b64 s[4:5], -1
	s_and_b64 vcc, exec, s[2:3]
	s_cbranch_vccz .LBB20_18
; %bb.17:
	v_mad_u64_u32 v[2:3], s[4:5], s30, v6, 0
	v_mov_b32_e32 v4, v3
	v_mad_u64_u32 v[4:5], s[4:5], s31, v6, v[4:5]
	v_mov_b32_e32 v3, v4
	v_lshl_add_u64 v[2:3], v[2:3], 2, s[28:29]
	v_lshl_add_u64 v[2:3], v[8:9], 2, v[2:3]
	;; [unrolled: 1-line block ×3, first 2 shown]
	global_load_dword v1, v[2:3], off
	s_mov_b64 s[4:5], 0
	s_waitcnt vmcnt(0)
	v_fma_f32 v1, s38, v1, v0
	global_store_dword v[2:3], v1, off
.LBB20_18:
	s_andn2_b64 vcc, exec, s[4:5]
	s_cbranch_vccnz .LBB20_20
; %bb.19:
	v_mad_u64_u32 v[2:3], s[4:5], s30, v8, 0
	v_mov_b32_e32 v4, v3
	v_mad_u64_u32 v[4:5], s[4:5], s31, v8, v[4:5]
	v_mov_b32_e32 v3, v4
	v_lshl_add_u64 v[2:3], v[2:3], 2, s[28:29]
	v_lshlrev_b32_e32 v4, 2, v6
	v_mov_b32_e32 v5, 0
	v_lshl_add_u64 v[2:3], v[2:3], 0, v[4:5]
	v_lshl_add_u64 v[2:3], s[0:1], 2, v[2:3]
	global_load_dword v1, v[2:3], off
	s_waitcnt vmcnt(0)
	v_fma_f32 v1, s38, v1, v0
	global_store_dword v[2:3], v1, off
.LBB20_20:
	s_cbranch_execz .LBB20_23
.LBB20_21:
	s_endpgm
.LBB20_22:
.LBB20_23:
	s_add_i32 s1, s7, s6
	s_mov_b64 s[4:5], -1
	s_and_b64 vcc, exec, s[2:3]
	s_cbranch_vccz .LBB20_25
; %bb.24:
	v_mad_u64_u32 v[2:3], s[2:3], s30, v6, 0
	v_mov_b32_e32 v4, v3
	v_mad_u64_u32 v[4:5], s[2:3], s31, v6, v[4:5]
	v_mov_b32_e32 v3, v4
	v_lshl_add_u64 v[2:3], v[2:3], 2, s[28:29]
	v_lshl_add_u64 v[2:3], v[8:9], 2, v[2:3]
	;; [unrolled: 1-line block ×3, first 2 shown]
	global_store_dword v[2:3], v0, off
	s_mov_b64 s[4:5], 0
.LBB20_25:
	s_andn2_b64 vcc, exec, s[4:5]
	s_cbranch_vccnz .LBB20_21
; %bb.26:
	v_mad_u64_u32 v[2:3], s[2:3], s30, v8, 0
	v_mov_b32_e32 v4, v3
	v_mad_u64_u32 v[4:5], s[2:3], s31, v8, v[4:5]
	v_mov_b32_e32 v3, v4
	v_lshl_add_u64 v[2:3], v[2:3], 2, s[28:29]
	v_lshlrev_b32_e32 v4, 2, v6
	v_mov_b32_e32 v5, 0
	v_lshl_add_u64 v[2:3], v[2:3], 0, v[4:5]
	v_lshl_add_u64 v[2:3], s[0:1], 2, v[2:3]
	global_store_dword v[2:3], v0, off
	s_endpgm
	.section	.rodata,"a",@progbits
	.p2align	6, 0x0
	.amdhsa_kernel _ZN9rocsparse31csrmmnn_row_split_shared_kernelILj256ELj8EfllaafEEvNS_24const_host_device_scalarIT1_EES3_bbbT3_S4_llPKT2_PKS4_PKT4_PKT5_llPT6_ll16rocsparse_order_21rocsparse_index_base_
		.amdhsa_group_segment_fixed_size 3072
		.amdhsa_private_segment_fixed_size 0
		.amdhsa_kernarg_size 136
		.amdhsa_user_sgpr_count 2
		.amdhsa_user_sgpr_dispatch_ptr 0
		.amdhsa_user_sgpr_queue_ptr 0
		.amdhsa_user_sgpr_kernarg_segment_ptr 1
		.amdhsa_user_sgpr_dispatch_id 0
		.amdhsa_user_sgpr_kernarg_preload_length 0
		.amdhsa_user_sgpr_kernarg_preload_offset 0
		.amdhsa_user_sgpr_private_segment_size 0
		.amdhsa_uses_dynamic_stack 0
		.amdhsa_enable_private_segment 0
		.amdhsa_system_sgpr_workgroup_id_x 1
		.amdhsa_system_sgpr_workgroup_id_y 1
		.amdhsa_system_sgpr_workgroup_id_z 1
		.amdhsa_system_sgpr_workgroup_info 0
		.amdhsa_system_vgpr_workitem_id 0
		.amdhsa_next_free_vgpr 43
		.amdhsa_next_free_sgpr 44
		.amdhsa_accum_offset 44
		.amdhsa_reserve_vcc 1
		.amdhsa_float_round_mode_32 0
		.amdhsa_float_round_mode_16_64 0
		.amdhsa_float_denorm_mode_32 3
		.amdhsa_float_denorm_mode_16_64 3
		.amdhsa_dx10_clamp 1
		.amdhsa_ieee_mode 1
		.amdhsa_fp16_overflow 0
		.amdhsa_tg_split 0
		.amdhsa_exception_fp_ieee_invalid_op 0
		.amdhsa_exception_fp_denorm_src 0
		.amdhsa_exception_fp_ieee_div_zero 0
		.amdhsa_exception_fp_ieee_overflow 0
		.amdhsa_exception_fp_ieee_underflow 0
		.amdhsa_exception_fp_ieee_inexact 0
		.amdhsa_exception_int_div_zero 0
	.end_amdhsa_kernel
	.section	.text._ZN9rocsparse31csrmmnn_row_split_shared_kernelILj256ELj8EfllaafEEvNS_24const_host_device_scalarIT1_EES3_bbbT3_S4_llPKT2_PKS4_PKT4_PKT5_llPT6_ll16rocsparse_order_21rocsparse_index_base_,"axG",@progbits,_ZN9rocsparse31csrmmnn_row_split_shared_kernelILj256ELj8EfllaafEEvNS_24const_host_device_scalarIT1_EES3_bbbT3_S4_llPKT2_PKS4_PKT4_PKT5_llPT6_ll16rocsparse_order_21rocsparse_index_base_,comdat
.Lfunc_end20:
	.size	_ZN9rocsparse31csrmmnn_row_split_shared_kernelILj256ELj8EfllaafEEvNS_24const_host_device_scalarIT1_EES3_bbbT3_S4_llPKT2_PKS4_PKT4_PKT5_llPT6_ll16rocsparse_order_21rocsparse_index_base_, .Lfunc_end20-_ZN9rocsparse31csrmmnn_row_split_shared_kernelILj256ELj8EfllaafEEvNS_24const_host_device_scalarIT1_EES3_bbbT3_S4_llPKT2_PKS4_PKT4_PKT5_llPT6_ll16rocsparse_order_21rocsparse_index_base_
                                        ; -- End function
	.set _ZN9rocsparse31csrmmnn_row_split_shared_kernelILj256ELj8EfllaafEEvNS_24const_host_device_scalarIT1_EES3_bbbT3_S4_llPKT2_PKS4_PKT4_PKT5_llPT6_ll16rocsparse_order_21rocsparse_index_base_.num_vgpr, 43
	.set _ZN9rocsparse31csrmmnn_row_split_shared_kernelILj256ELj8EfllaafEEvNS_24const_host_device_scalarIT1_EES3_bbbT3_S4_llPKT2_PKS4_PKT4_PKT5_llPT6_ll16rocsparse_order_21rocsparse_index_base_.num_agpr, 0
	.set _ZN9rocsparse31csrmmnn_row_split_shared_kernelILj256ELj8EfllaafEEvNS_24const_host_device_scalarIT1_EES3_bbbT3_S4_llPKT2_PKS4_PKT4_PKT5_llPT6_ll16rocsparse_order_21rocsparse_index_base_.numbered_sgpr, 44
	.set _ZN9rocsparse31csrmmnn_row_split_shared_kernelILj256ELj8EfllaafEEvNS_24const_host_device_scalarIT1_EES3_bbbT3_S4_llPKT2_PKS4_PKT4_PKT5_llPT6_ll16rocsparse_order_21rocsparse_index_base_.num_named_barrier, 0
	.set _ZN9rocsparse31csrmmnn_row_split_shared_kernelILj256ELj8EfllaafEEvNS_24const_host_device_scalarIT1_EES3_bbbT3_S4_llPKT2_PKS4_PKT4_PKT5_llPT6_ll16rocsparse_order_21rocsparse_index_base_.private_seg_size, 0
	.set _ZN9rocsparse31csrmmnn_row_split_shared_kernelILj256ELj8EfllaafEEvNS_24const_host_device_scalarIT1_EES3_bbbT3_S4_llPKT2_PKS4_PKT4_PKT5_llPT6_ll16rocsparse_order_21rocsparse_index_base_.uses_vcc, 1
	.set _ZN9rocsparse31csrmmnn_row_split_shared_kernelILj256ELj8EfllaafEEvNS_24const_host_device_scalarIT1_EES3_bbbT3_S4_llPKT2_PKS4_PKT4_PKT5_llPT6_ll16rocsparse_order_21rocsparse_index_base_.uses_flat_scratch, 0
	.set _ZN9rocsparse31csrmmnn_row_split_shared_kernelILj256ELj8EfllaafEEvNS_24const_host_device_scalarIT1_EES3_bbbT3_S4_llPKT2_PKS4_PKT4_PKT5_llPT6_ll16rocsparse_order_21rocsparse_index_base_.has_dyn_sized_stack, 0
	.set _ZN9rocsparse31csrmmnn_row_split_shared_kernelILj256ELj8EfllaafEEvNS_24const_host_device_scalarIT1_EES3_bbbT3_S4_llPKT2_PKS4_PKT4_PKT5_llPT6_ll16rocsparse_order_21rocsparse_index_base_.has_recursion, 0
	.set _ZN9rocsparse31csrmmnn_row_split_shared_kernelILj256ELj8EfllaafEEvNS_24const_host_device_scalarIT1_EES3_bbbT3_S4_llPKT2_PKS4_PKT4_PKT5_llPT6_ll16rocsparse_order_21rocsparse_index_base_.has_indirect_call, 0
	.section	.AMDGPU.csdata,"",@progbits
; Kernel info:
; codeLenInByte = 1332
; TotalNumSgprs: 50
; NumVgprs: 43
; NumAgprs: 0
; TotalNumVgprs: 43
; ScratchSize: 0
; MemoryBound: 0
; FloatMode: 240
; IeeeMode: 1
; LDSByteSize: 3072 bytes/workgroup (compile time only)
; SGPRBlocks: 6
; VGPRBlocks: 5
; NumSGPRsForWavesPerEU: 50
; NumVGPRsForWavesPerEU: 43
; AccumOffset: 44
; Occupancy: 8
; WaveLimiterHint : 0
; COMPUTE_PGM_RSRC2:SCRATCH_EN: 0
; COMPUTE_PGM_RSRC2:USER_SGPR: 2
; COMPUTE_PGM_RSRC2:TRAP_HANDLER: 0
; COMPUTE_PGM_RSRC2:TGID_X_EN: 1
; COMPUTE_PGM_RSRC2:TGID_Y_EN: 1
; COMPUTE_PGM_RSRC2:TGID_Z_EN: 1
; COMPUTE_PGM_RSRC2:TIDIG_COMP_CNT: 0
; COMPUTE_PGM_RSRC3_GFX90A:ACCUM_OFFSET: 10
; COMPUTE_PGM_RSRC3_GFX90A:TG_SPLIT: 0
	.section	.AMDGPU.gpr_maximums,"",@progbits
	.set amdgpu.max_num_vgpr, 0
	.set amdgpu.max_num_agpr, 0
	.set amdgpu.max_num_sgpr, 0
	.section	.AMDGPU.csdata,"",@progbits
	.type	__hip_cuid_17e370b7cfd7f99d,@object ; @__hip_cuid_17e370b7cfd7f99d
	.section	.bss,"aw",@nobits
	.globl	__hip_cuid_17e370b7cfd7f99d
__hip_cuid_17e370b7cfd7f99d:
	.byte	0                               ; 0x0
	.size	__hip_cuid_17e370b7cfd7f99d, 1

	.ident	"AMD clang version 22.0.0git (https://github.com/RadeonOpenCompute/llvm-project roc-7.2.4 26084 f58b06dce1f9c15707c5f808fd002e18c2accf7e)"
	.section	".note.GNU-stack","",@progbits
	.addrsig
	.addrsig_sym __hip_cuid_17e370b7cfd7f99d
	.amdgpu_metadata
---
amdhsa.kernels:
  - .agpr_count:     0
    .args:
      - .offset:         0
        .size:           8
        .value_kind:     by_value
      - .offset:         8
        .size:           8
        .value_kind:     by_value
      - .offset:         16
        .size:           1
        .value_kind:     by_value
      - .offset:         17
        .size:           1
        .value_kind:     by_value
      - .offset:         18
        .size:           1
        .value_kind:     by_value
      - .offset:         20
        .size:           4
        .value_kind:     by_value
      - .offset:         24
        .size:           4
        .value_kind:     by_value
      - .offset:         32
        .size:           8
        .value_kind:     by_value
      - .offset:         40
        .size:           8
        .value_kind:     by_value
      - .address_space:  global
        .offset:         48
        .size:           8
        .value_kind:     global_buffer
      - .address_space:  global
        .offset:         56
        .size:           8
        .value_kind:     global_buffer
      - .address_space:  global
        .offset:         64
        .size:           8
        .value_kind:     global_buffer
      - .address_space:  global
        .offset:         72
        .size:           8
        .value_kind:     global_buffer
      - .offset:         80
        .size:           8
        .value_kind:     by_value
      - .offset:         88
        .size:           8
        .value_kind:     by_value
      - .address_space:  global
        .offset:         96
        .size:           8
        .value_kind:     global_buffer
      - .offset:         104
        .size:           8
        .value_kind:     by_value
      - .offset:         112
        .size:           8
        .value_kind:     by_value
      - .offset:         120
        .size:           4
        .value_kind:     by_value
      - .offset:         124
        .size:           4
        .value_kind:     by_value
    .group_segment_fixed_size: 2048
    .kernarg_segment_align: 8
    .kernarg_segment_size: 128
    .language:       OpenCL C
    .language_version:
      - 2
      - 0
    .max_flat_workgroup_size: 256
    .name:           _ZN9rocsparse31csrmmnn_row_split_shared_kernelILj256ELj8EfiifffEEvNS_24const_host_device_scalarIT1_EES3_bbbT3_S4_llPKT2_PKS4_PKT4_PKT5_llPT6_ll16rocsparse_order_21rocsparse_index_base_
    .private_segment_fixed_size: 0
    .sgpr_count:     38
    .sgpr_spill_count: 0
    .symbol:         _ZN9rocsparse31csrmmnn_row_split_shared_kernelILj256ELj8EfiifffEEvNS_24const_host_device_scalarIT1_EES3_bbbT3_S4_llPKT2_PKS4_PKT4_PKT5_llPT6_ll16rocsparse_order_21rocsparse_index_base_.kd
    .uniform_work_group_size: 1
    .uses_dynamic_stack: false
    .vgpr_count:     38
    .vgpr_spill_count: 0
    .wavefront_size: 64
  - .agpr_count:     0
    .args:
      - .offset:         0
        .size:           8
        .value_kind:     by_value
      - .offset:         8
        .size:           8
        .value_kind:     by_value
      - .offset:         16
        .size:           1
        .value_kind:     by_value
      - .offset:         17
        .size:           1
        .value_kind:     by_value
      - .offset:         18
        .size:           1
        .value_kind:     by_value
      - .offset:         20
        .size:           4
        .value_kind:     by_value
      - .offset:         24
        .size:           4
        .value_kind:     by_value
      - .offset:         32
        .size:           8
        .value_kind:     by_value
      - .offset:         40
        .size:           8
        .value_kind:     by_value
      - .address_space:  global
        .offset:         48
        .size:           8
        .value_kind:     global_buffer
      - .address_space:  global
        .offset:         56
        .size:           8
        .value_kind:     global_buffer
      - .address_space:  global
        .offset:         64
        .size:           8
        .value_kind:     global_buffer
      - .address_space:  global
        .offset:         72
        .size:           8
        .value_kind:     global_buffer
      - .offset:         80
        .size:           8
        .value_kind:     by_value
      - .offset:         88
        .size:           8
        .value_kind:     by_value
      - .address_space:  global
        .offset:         96
        .size:           8
        .value_kind:     global_buffer
      - .offset:         104
        .size:           8
        .value_kind:     by_value
      - .offset:         112
        .size:           8
        .value_kind:     by_value
      - .offset:         120
        .size:           4
        .value_kind:     by_value
      - .offset:         124
        .size:           4
        .value_kind:     by_value
    .group_segment_fixed_size: 2048
    .kernarg_segment_align: 8
    .kernarg_segment_size: 128
    .language:       OpenCL C
    .language_version:
      - 2
      - 0
    .max_flat_workgroup_size: 256
    .name:           _ZN9rocsparse31csrmmnn_row_split_shared_kernelILj256ELj8EflifffEEvNS_24const_host_device_scalarIT1_EES3_bbbT3_S4_llPKT2_PKS4_PKT4_PKT5_llPT6_ll16rocsparse_order_21rocsparse_index_base_
    .private_segment_fixed_size: 0
    .sgpr_count:     38
    .sgpr_spill_count: 0
    .symbol:         _ZN9rocsparse31csrmmnn_row_split_shared_kernelILj256ELj8EflifffEEvNS_24const_host_device_scalarIT1_EES3_bbbT3_S4_llPKT2_PKS4_PKT4_PKT5_llPT6_ll16rocsparse_order_21rocsparse_index_base_.kd
    .uniform_work_group_size: 1
    .uses_dynamic_stack: false
    .vgpr_count:     44
    .vgpr_spill_count: 0
    .wavefront_size: 64
  - .agpr_count:     0
    .args:
      - .offset:         0
        .size:           8
        .value_kind:     by_value
      - .offset:         8
        .size:           8
        .value_kind:     by_value
      - .offset:         16
        .size:           1
        .value_kind:     by_value
      - .offset:         17
        .size:           1
        .value_kind:     by_value
      - .offset:         18
        .size:           1
        .value_kind:     by_value
      - .offset:         24
        .size:           8
        .value_kind:     by_value
      - .offset:         32
        .size:           8
        .value_kind:     by_value
      - .offset:         40
        .size:           8
        .value_kind:     by_value
      - .offset:         48
        .size:           8
        .value_kind:     by_value
      - .address_space:  global
        .offset:         56
        .size:           8
        .value_kind:     global_buffer
      - .address_space:  global
        .offset:         64
        .size:           8
        .value_kind:     global_buffer
      - .address_space:  global
        .offset:         72
        .size:           8
        .value_kind:     global_buffer
      - .address_space:  global
        .offset:         80
        .size:           8
        .value_kind:     global_buffer
      - .offset:         88
        .size:           8
        .value_kind:     by_value
      - .offset:         96
        .size:           8
        .value_kind:     by_value
      - .address_space:  global
        .offset:         104
        .size:           8
        .value_kind:     global_buffer
      - .offset:         112
        .size:           8
        .value_kind:     by_value
      - .offset:         120
        .size:           8
        .value_kind:     by_value
      - .offset:         128
        .size:           4
        .value_kind:     by_value
      - .offset:         132
        .size:           4
        .value_kind:     by_value
    .group_segment_fixed_size: 3072
    .kernarg_segment_align: 8
    .kernarg_segment_size: 136
    .language:       OpenCL C
    .language_version:
      - 2
      - 0
    .max_flat_workgroup_size: 256
    .name:           _ZN9rocsparse31csrmmnn_row_split_shared_kernelILj256ELj8EfllfffEEvNS_24const_host_device_scalarIT1_EES3_bbbT3_S4_llPKT2_PKS4_PKT4_PKT5_llPT6_ll16rocsparse_order_21rocsparse_index_base_
    .private_segment_fixed_size: 0
    .sgpr_count:     50
    .sgpr_spill_count: 0
    .symbol:         _ZN9rocsparse31csrmmnn_row_split_shared_kernelILj256ELj8EfllfffEEvNS_24const_host_device_scalarIT1_EES3_bbbT3_S4_llPKT2_PKS4_PKT4_PKT5_llPT6_ll16rocsparse_order_21rocsparse_index_base_.kd
    .uniform_work_group_size: 1
    .uses_dynamic_stack: false
    .vgpr_count:     44
    .vgpr_spill_count: 0
    .wavefront_size: 64
  - .agpr_count:     0
    .args:
      - .offset:         0
        .size:           8
        .value_kind:     by_value
      - .offset:         8
        .size:           8
        .value_kind:     by_value
      - .offset:         16
        .size:           1
        .value_kind:     by_value
      - .offset:         17
        .size:           1
        .value_kind:     by_value
      - .offset:         18
        .size:           1
        .value_kind:     by_value
      - .offset:         20
        .size:           4
        .value_kind:     by_value
      - .offset:         24
        .size:           4
        .value_kind:     by_value
      - .offset:         32
        .size:           8
        .value_kind:     by_value
      - .offset:         40
        .size:           8
        .value_kind:     by_value
      - .address_space:  global
        .offset:         48
        .size:           8
        .value_kind:     global_buffer
      - .address_space:  global
        .offset:         56
        .size:           8
        .value_kind:     global_buffer
      - .address_space:  global
        .offset:         64
        .size:           8
        .value_kind:     global_buffer
      - .address_space:  global
        .offset:         72
        .size:           8
        .value_kind:     global_buffer
      - .offset:         80
        .size:           8
        .value_kind:     by_value
      - .offset:         88
        .size:           8
        .value_kind:     by_value
      - .address_space:  global
        .offset:         96
        .size:           8
        .value_kind:     global_buffer
      - .offset:         104
        .size:           8
        .value_kind:     by_value
      - .offset:         112
        .size:           8
        .value_kind:     by_value
      - .offset:         120
        .size:           4
        .value_kind:     by_value
      - .offset:         124
        .size:           4
        .value_kind:     by_value
    .group_segment_fixed_size: 3072
    .kernarg_segment_align: 8
    .kernarg_segment_size: 128
    .language:       OpenCL C
    .language_version:
      - 2
      - 0
    .max_flat_workgroup_size: 256
    .name:           _ZN9rocsparse31csrmmnn_row_split_shared_kernelILj256ELj8EdiidddEEvNS_24const_host_device_scalarIT1_EES3_bbbT3_S4_llPKT2_PKS4_PKT4_PKT5_llPT6_ll16rocsparse_order_21rocsparse_index_base_
    .private_segment_fixed_size: 0
    .sgpr_count:     34
    .sgpr_spill_count: 0
    .symbol:         _ZN9rocsparse31csrmmnn_row_split_shared_kernelILj256ELj8EdiidddEEvNS_24const_host_device_scalarIT1_EES3_bbbT3_S4_llPKT2_PKS4_PKT4_PKT5_llPT6_ll16rocsparse_order_21rocsparse_index_base_.kd
    .uniform_work_group_size: 1
    .uses_dynamic_stack: false
    .vgpr_count:     52
    .vgpr_spill_count: 0
    .wavefront_size: 64
  - .agpr_count:     0
    .args:
      - .offset:         0
        .size:           8
        .value_kind:     by_value
      - .offset:         8
        .size:           8
        .value_kind:     by_value
      - .offset:         16
        .size:           1
        .value_kind:     by_value
      - .offset:         17
        .size:           1
        .value_kind:     by_value
      - .offset:         18
        .size:           1
        .value_kind:     by_value
      - .offset:         20
        .size:           4
        .value_kind:     by_value
      - .offset:         24
        .size:           4
        .value_kind:     by_value
      - .offset:         32
        .size:           8
        .value_kind:     by_value
      - .offset:         40
        .size:           8
        .value_kind:     by_value
      - .address_space:  global
        .offset:         48
        .size:           8
        .value_kind:     global_buffer
      - .address_space:  global
        .offset:         56
        .size:           8
        .value_kind:     global_buffer
      - .address_space:  global
        .offset:         64
        .size:           8
        .value_kind:     global_buffer
      - .address_space:  global
        .offset:         72
        .size:           8
        .value_kind:     global_buffer
      - .offset:         80
        .size:           8
        .value_kind:     by_value
      - .offset:         88
        .size:           8
        .value_kind:     by_value
      - .address_space:  global
        .offset:         96
        .size:           8
        .value_kind:     global_buffer
      - .offset:         104
        .size:           8
        .value_kind:     by_value
      - .offset:         112
        .size:           8
        .value_kind:     by_value
      - .offset:         120
        .size:           4
        .value_kind:     by_value
      - .offset:         124
        .size:           4
        .value_kind:     by_value
    .group_segment_fixed_size: 3072
    .kernarg_segment_align: 8
    .kernarg_segment_size: 128
    .language:       OpenCL C
    .language_version:
      - 2
      - 0
    .max_flat_workgroup_size: 256
    .name:           _ZN9rocsparse31csrmmnn_row_split_shared_kernelILj256ELj8EdlidddEEvNS_24const_host_device_scalarIT1_EES3_bbbT3_S4_llPKT2_PKS4_PKT4_PKT5_llPT6_ll16rocsparse_order_21rocsparse_index_base_
    .private_segment_fixed_size: 0
    .sgpr_count:     34
    .sgpr_spill_count: 0
    .symbol:         _ZN9rocsparse31csrmmnn_row_split_shared_kernelILj256ELj8EdlidddEEvNS_24const_host_device_scalarIT1_EES3_bbbT3_S4_llPKT2_PKS4_PKT4_PKT5_llPT6_ll16rocsparse_order_21rocsparse_index_base_.kd
    .uniform_work_group_size: 1
    .uses_dynamic_stack: false
    .vgpr_count:     58
    .vgpr_spill_count: 0
    .wavefront_size: 64
  - .agpr_count:     0
    .args:
      - .offset:         0
        .size:           8
        .value_kind:     by_value
      - .offset:         8
        .size:           8
        .value_kind:     by_value
      - .offset:         16
        .size:           1
        .value_kind:     by_value
      - .offset:         17
        .size:           1
        .value_kind:     by_value
      - .offset:         18
        .size:           1
        .value_kind:     by_value
      - .offset:         24
        .size:           8
        .value_kind:     by_value
      - .offset:         32
        .size:           8
        .value_kind:     by_value
      - .offset:         40
        .size:           8
        .value_kind:     by_value
      - .offset:         48
        .size:           8
        .value_kind:     by_value
      - .address_space:  global
        .offset:         56
        .size:           8
        .value_kind:     global_buffer
      - .address_space:  global
        .offset:         64
        .size:           8
        .value_kind:     global_buffer
      - .address_space:  global
        .offset:         72
        .size:           8
        .value_kind:     global_buffer
      - .address_space:  global
        .offset:         80
        .size:           8
        .value_kind:     global_buffer
      - .offset:         88
        .size:           8
        .value_kind:     by_value
      - .offset:         96
        .size:           8
        .value_kind:     by_value
      - .address_space:  global
        .offset:         104
        .size:           8
        .value_kind:     global_buffer
      - .offset:         112
        .size:           8
        .value_kind:     by_value
      - .offset:         120
        .size:           8
        .value_kind:     by_value
      - .offset:         128
        .size:           4
        .value_kind:     by_value
      - .offset:         132
        .size:           4
        .value_kind:     by_value
    .group_segment_fixed_size: 4096
    .kernarg_segment_align: 8
    .kernarg_segment_size: 136
    .language:       OpenCL C
    .language_version:
      - 2
      - 0
    .max_flat_workgroup_size: 256
    .name:           _ZN9rocsparse31csrmmnn_row_split_shared_kernelILj256ELj8EdlldddEEvNS_24const_host_device_scalarIT1_EES3_bbbT3_S4_llPKT2_PKS4_PKT4_PKT5_llPT6_ll16rocsparse_order_21rocsparse_index_base_
    .private_segment_fixed_size: 0
    .sgpr_count:     46
    .sgpr_spill_count: 0
    .symbol:         _ZN9rocsparse31csrmmnn_row_split_shared_kernelILj256ELj8EdlldddEEvNS_24const_host_device_scalarIT1_EES3_bbbT3_S4_llPKT2_PKS4_PKT4_PKT5_llPT6_ll16rocsparse_order_21rocsparse_index_base_.kd
    .uniform_work_group_size: 1
    .uses_dynamic_stack: false
    .vgpr_count:     60
    .vgpr_spill_count: 0
    .wavefront_size: 64
  - .agpr_count:     0
    .args:
      - .offset:         0
        .size:           8
        .value_kind:     by_value
      - .offset:         8
        .size:           8
        .value_kind:     by_value
      - .offset:         16
        .size:           1
        .value_kind:     by_value
      - .offset:         17
        .size:           1
        .value_kind:     by_value
      - .offset:         18
        .size:           1
        .value_kind:     by_value
      - .offset:         20
        .size:           4
        .value_kind:     by_value
      - .offset:         24
        .size:           4
        .value_kind:     by_value
      - .offset:         32
        .size:           8
        .value_kind:     by_value
      - .offset:         40
        .size:           8
        .value_kind:     by_value
      - .address_space:  global
        .offset:         48
        .size:           8
        .value_kind:     global_buffer
      - .address_space:  global
        .offset:         56
        .size:           8
        .value_kind:     global_buffer
      - .address_space:  global
        .offset:         64
        .size:           8
        .value_kind:     global_buffer
      - .address_space:  global
        .offset:         72
        .size:           8
        .value_kind:     global_buffer
      - .offset:         80
        .size:           8
        .value_kind:     by_value
      - .offset:         88
        .size:           8
        .value_kind:     by_value
      - .address_space:  global
        .offset:         96
        .size:           8
        .value_kind:     global_buffer
      - .offset:         104
        .size:           8
        .value_kind:     by_value
      - .offset:         112
        .size:           8
        .value_kind:     by_value
      - .offset:         120
        .size:           4
        .value_kind:     by_value
      - .offset:         124
        .size:           4
        .value_kind:     by_value
    .group_segment_fixed_size: 3072
    .kernarg_segment_align: 8
    .kernarg_segment_size: 128
    .language:       OpenCL C
    .language_version:
      - 2
      - 0
    .max_flat_workgroup_size: 256
    .name:           _ZN9rocsparse31csrmmnn_row_split_shared_kernelILj256ELj8E21rocsparse_complex_numIfEiiS2_S2_S2_EEvNS_24const_host_device_scalarIT1_EES5_bbbT3_S6_llPKT2_PKS6_PKT4_PKT5_llPT6_ll16rocsparse_order_21rocsparse_index_base_
    .private_segment_fixed_size: 0
    .sgpr_count:     37
    .sgpr_spill_count: 0
    .symbol:         _ZN9rocsparse31csrmmnn_row_split_shared_kernelILj256ELj8E21rocsparse_complex_numIfEiiS2_S2_S2_EEvNS_24const_host_device_scalarIT1_EES5_bbbT3_S6_llPKT2_PKS6_PKT4_PKT5_llPT6_ll16rocsparse_order_21rocsparse_index_base_.kd
    .uniform_work_group_size: 1
    .uses_dynamic_stack: false
    .vgpr_count:     64
    .vgpr_spill_count: 0
    .wavefront_size: 64
  - .agpr_count:     0
    .args:
      - .offset:         0
        .size:           8
        .value_kind:     by_value
      - .offset:         8
        .size:           8
        .value_kind:     by_value
      - .offset:         16
        .size:           1
        .value_kind:     by_value
      - .offset:         17
        .size:           1
        .value_kind:     by_value
      - .offset:         18
        .size:           1
        .value_kind:     by_value
      - .offset:         20
        .size:           4
        .value_kind:     by_value
      - .offset:         24
        .size:           4
        .value_kind:     by_value
      - .offset:         32
        .size:           8
        .value_kind:     by_value
      - .offset:         40
        .size:           8
        .value_kind:     by_value
      - .address_space:  global
        .offset:         48
        .size:           8
        .value_kind:     global_buffer
      - .address_space:  global
        .offset:         56
        .size:           8
        .value_kind:     global_buffer
      - .address_space:  global
        .offset:         64
        .size:           8
        .value_kind:     global_buffer
      - .address_space:  global
        .offset:         72
        .size:           8
        .value_kind:     global_buffer
      - .offset:         80
        .size:           8
        .value_kind:     by_value
      - .offset:         88
        .size:           8
        .value_kind:     by_value
      - .address_space:  global
        .offset:         96
        .size:           8
        .value_kind:     global_buffer
      - .offset:         104
        .size:           8
        .value_kind:     by_value
      - .offset:         112
        .size:           8
        .value_kind:     by_value
      - .offset:         120
        .size:           4
        .value_kind:     by_value
      - .offset:         124
        .size:           4
        .value_kind:     by_value
    .group_segment_fixed_size: 3072
    .kernarg_segment_align: 8
    .kernarg_segment_size: 128
    .language:       OpenCL C
    .language_version:
      - 2
      - 0
    .max_flat_workgroup_size: 256
    .name:           _ZN9rocsparse31csrmmnn_row_split_shared_kernelILj256ELj8E21rocsparse_complex_numIfEliS2_S2_S2_EEvNS_24const_host_device_scalarIT1_EES5_bbbT3_S6_llPKT2_PKS6_PKT4_PKT5_llPT6_ll16rocsparse_order_21rocsparse_index_base_
    .private_segment_fixed_size: 0
    .sgpr_count:     37
    .sgpr_spill_count: 0
    .symbol:         _ZN9rocsparse31csrmmnn_row_split_shared_kernelILj256ELj8E21rocsparse_complex_numIfEliS2_S2_S2_EEvNS_24const_host_device_scalarIT1_EES5_bbbT3_S6_llPKT2_PKS6_PKT4_PKT5_llPT6_ll16rocsparse_order_21rocsparse_index_base_.kd
    .uniform_work_group_size: 1
    .uses_dynamic_stack: false
    .vgpr_count:     80
    .vgpr_spill_count: 0
    .wavefront_size: 64
  - .agpr_count:     0
    .args:
      - .offset:         0
        .size:           8
        .value_kind:     by_value
      - .offset:         8
        .size:           8
        .value_kind:     by_value
      - .offset:         16
        .size:           1
        .value_kind:     by_value
      - .offset:         17
        .size:           1
        .value_kind:     by_value
      - .offset:         18
        .size:           1
        .value_kind:     by_value
      - .offset:         24
        .size:           8
        .value_kind:     by_value
      - .offset:         32
        .size:           8
        .value_kind:     by_value
      - .offset:         40
        .size:           8
        .value_kind:     by_value
      - .offset:         48
        .size:           8
        .value_kind:     by_value
      - .address_space:  global
        .offset:         56
        .size:           8
        .value_kind:     global_buffer
      - .address_space:  global
        .offset:         64
        .size:           8
        .value_kind:     global_buffer
      - .address_space:  global
        .offset:         72
        .size:           8
        .value_kind:     global_buffer
      - .address_space:  global
        .offset:         80
        .size:           8
        .value_kind:     global_buffer
      - .offset:         88
        .size:           8
        .value_kind:     by_value
      - .offset:         96
        .size:           8
        .value_kind:     by_value
      - .address_space:  global
        .offset:         104
        .size:           8
        .value_kind:     global_buffer
      - .offset:         112
        .size:           8
        .value_kind:     by_value
      - .offset:         120
        .size:           8
        .value_kind:     by_value
      - .offset:         128
        .size:           4
        .value_kind:     by_value
      - .offset:         132
        .size:           4
        .value_kind:     by_value
    .group_segment_fixed_size: 4096
    .kernarg_segment_align: 8
    .kernarg_segment_size: 136
    .language:       OpenCL C
    .language_version:
      - 2
      - 0
    .max_flat_workgroup_size: 256
    .name:           _ZN9rocsparse31csrmmnn_row_split_shared_kernelILj256ELj8E21rocsparse_complex_numIfEllS2_S2_S2_EEvNS_24const_host_device_scalarIT1_EES5_bbbT3_S6_llPKT2_PKS6_PKT4_PKT5_llPT6_ll16rocsparse_order_21rocsparse_index_base_
    .private_segment_fixed_size: 0
    .sgpr_count:     46
    .sgpr_spill_count: 0
    .symbol:         _ZN9rocsparse31csrmmnn_row_split_shared_kernelILj256ELj8E21rocsparse_complex_numIfEllS2_S2_S2_EEvNS_24const_host_device_scalarIT1_EES5_bbbT3_S6_llPKT2_PKS6_PKT4_PKT5_llPT6_ll16rocsparse_order_21rocsparse_index_base_.kd
    .uniform_work_group_size: 1
    .uses_dynamic_stack: false
    .vgpr_count:     64
    .vgpr_spill_count: 0
    .wavefront_size: 64
  - .agpr_count:     0
    .args:
      - .offset:         0
        .size:           16
        .value_kind:     by_value
      - .offset:         16
        .size:           16
        .value_kind:     by_value
      - .offset:         32
        .size:           1
        .value_kind:     by_value
      - .offset:         33
        .size:           1
        .value_kind:     by_value
      - .offset:         34
        .size:           1
        .value_kind:     by_value
      - .offset:         36
        .size:           4
        .value_kind:     by_value
      - .offset:         40
        .size:           4
        .value_kind:     by_value
      - .offset:         48
        .size:           8
        .value_kind:     by_value
      - .offset:         56
        .size:           8
        .value_kind:     by_value
      - .address_space:  global
        .offset:         64
        .size:           8
        .value_kind:     global_buffer
      - .address_space:  global
        .offset:         72
        .size:           8
        .value_kind:     global_buffer
      - .address_space:  global
        .offset:         80
        .size:           8
        .value_kind:     global_buffer
      - .address_space:  global
        .offset:         88
        .size:           8
        .value_kind:     global_buffer
      - .offset:         96
        .size:           8
        .value_kind:     by_value
      - .offset:         104
        .size:           8
        .value_kind:     by_value
      - .address_space:  global
        .offset:         112
        .size:           8
        .value_kind:     global_buffer
      - .offset:         120
        .size:           8
        .value_kind:     by_value
      - .offset:         128
        .size:           8
        .value_kind:     by_value
      - .offset:         136
        .size:           4
        .value_kind:     by_value
      - .offset:         140
        .size:           4
        .value_kind:     by_value
    .group_segment_fixed_size: 5120
    .kernarg_segment_align: 8
    .kernarg_segment_size: 144
    .language:       OpenCL C
    .language_version:
      - 2
      - 0
    .max_flat_workgroup_size: 256
    .name:           _ZN9rocsparse31csrmmnn_row_split_shared_kernelILj256ELj8E21rocsparse_complex_numIdEiiS2_S2_S2_EEvNS_24const_host_device_scalarIT1_EES5_bbbT3_S6_llPKT2_PKS6_PKT4_PKT5_llPT6_ll16rocsparse_order_21rocsparse_index_base_
    .private_segment_fixed_size: 0
    .sgpr_count:     37
    .sgpr_spill_count: 0
    .symbol:         _ZN9rocsparse31csrmmnn_row_split_shared_kernelILj256ELj8E21rocsparse_complex_numIdEiiS2_S2_S2_EEvNS_24const_host_device_scalarIT1_EES5_bbbT3_S6_llPKT2_PKS6_PKT4_PKT5_llPT6_ll16rocsparse_order_21rocsparse_index_base_.kd
    .uniform_work_group_size: 1
    .uses_dynamic_stack: false
    .vgpr_count:     92
    .vgpr_spill_count: 0
    .wavefront_size: 64
  - .agpr_count:     0
    .args:
      - .offset:         0
        .size:           16
        .value_kind:     by_value
      - .offset:         16
        .size:           16
        .value_kind:     by_value
      - .offset:         32
        .size:           1
        .value_kind:     by_value
      - .offset:         33
        .size:           1
        .value_kind:     by_value
      - .offset:         34
        .size:           1
        .value_kind:     by_value
      - .offset:         36
        .size:           4
        .value_kind:     by_value
      - .offset:         40
        .size:           4
        .value_kind:     by_value
      - .offset:         48
        .size:           8
        .value_kind:     by_value
      - .offset:         56
        .size:           8
        .value_kind:     by_value
      - .address_space:  global
        .offset:         64
        .size:           8
        .value_kind:     global_buffer
      - .address_space:  global
        .offset:         72
        .size:           8
        .value_kind:     global_buffer
      - .address_space:  global
        .offset:         80
        .size:           8
        .value_kind:     global_buffer
      - .address_space:  global
        .offset:         88
        .size:           8
        .value_kind:     global_buffer
      - .offset:         96
        .size:           8
        .value_kind:     by_value
      - .offset:         104
        .size:           8
        .value_kind:     by_value
      - .address_space:  global
        .offset:         112
        .size:           8
        .value_kind:     global_buffer
      - .offset:         120
        .size:           8
        .value_kind:     by_value
      - .offset:         128
        .size:           8
        .value_kind:     by_value
      - .offset:         136
        .size:           4
        .value_kind:     by_value
      - .offset:         140
        .size:           4
        .value_kind:     by_value
    .group_segment_fixed_size: 5120
    .kernarg_segment_align: 8
    .kernarg_segment_size: 144
    .language:       OpenCL C
    .language_version:
      - 2
      - 0
    .max_flat_workgroup_size: 256
    .name:           _ZN9rocsparse31csrmmnn_row_split_shared_kernelILj256ELj8E21rocsparse_complex_numIdEliS2_S2_S2_EEvNS_24const_host_device_scalarIT1_EES5_bbbT3_S6_llPKT2_PKS6_PKT4_PKT5_llPT6_ll16rocsparse_order_21rocsparse_index_base_
    .private_segment_fixed_size: 0
    .sgpr_count:     37
    .sgpr_spill_count: 0
    .symbol:         _ZN9rocsparse31csrmmnn_row_split_shared_kernelILj256ELj8E21rocsparse_complex_numIdEliS2_S2_S2_EEvNS_24const_host_device_scalarIT1_EES5_bbbT3_S6_llPKT2_PKS6_PKT4_PKT5_llPT6_ll16rocsparse_order_21rocsparse_index_base_.kd
    .uniform_work_group_size: 1
    .uses_dynamic_stack: false
    .vgpr_count:     102
    .vgpr_spill_count: 0
    .wavefront_size: 64
  - .agpr_count:     0
    .args:
      - .offset:         0
        .size:           16
        .value_kind:     by_value
      - .offset:         16
        .size:           16
        .value_kind:     by_value
      - .offset:         32
        .size:           1
        .value_kind:     by_value
      - .offset:         33
        .size:           1
        .value_kind:     by_value
      - .offset:         34
        .size:           1
        .value_kind:     by_value
      - .offset:         40
        .size:           8
        .value_kind:     by_value
      - .offset:         48
        .size:           8
        .value_kind:     by_value
      - .offset:         56
        .size:           8
        .value_kind:     by_value
      - .offset:         64
        .size:           8
        .value_kind:     by_value
      - .address_space:  global
        .offset:         72
        .size:           8
        .value_kind:     global_buffer
      - .address_space:  global
        .offset:         80
        .size:           8
        .value_kind:     global_buffer
      - .address_space:  global
        .offset:         88
        .size:           8
        .value_kind:     global_buffer
      - .address_space:  global
        .offset:         96
        .size:           8
        .value_kind:     global_buffer
      - .offset:         104
        .size:           8
        .value_kind:     by_value
      - .offset:         112
        .size:           8
        .value_kind:     by_value
      - .address_space:  global
        .offset:         120
        .size:           8
        .value_kind:     global_buffer
      - .offset:         128
        .size:           8
        .value_kind:     by_value
      - .offset:         136
        .size:           8
        .value_kind:     by_value
      - .offset:         144
        .size:           4
        .value_kind:     by_value
      - .offset:         148
        .size:           4
        .value_kind:     by_value
    .group_segment_fixed_size: 6144
    .kernarg_segment_align: 8
    .kernarg_segment_size: 152
    .language:       OpenCL C
    .language_version:
      - 2
      - 0
    .max_flat_workgroup_size: 256
    .name:           _ZN9rocsparse31csrmmnn_row_split_shared_kernelILj256ELj8E21rocsparse_complex_numIdEllS2_S2_S2_EEvNS_24const_host_device_scalarIT1_EES5_bbbT3_S6_llPKT2_PKS6_PKT4_PKT5_llPT6_ll16rocsparse_order_21rocsparse_index_base_
    .private_segment_fixed_size: 0
    .sgpr_count:     46
    .sgpr_spill_count: 0
    .symbol:         _ZN9rocsparse31csrmmnn_row_split_shared_kernelILj256ELj8E21rocsparse_complex_numIdEllS2_S2_S2_EEvNS_24const_host_device_scalarIT1_EES5_bbbT3_S6_llPKT2_PKS6_PKT4_PKT5_llPT6_ll16rocsparse_order_21rocsparse_index_base_.kd
    .uniform_work_group_size: 1
    .uses_dynamic_stack: false
    .vgpr_count:     102
    .vgpr_spill_count: 0
    .wavefront_size: 64
  - .agpr_count:     0
    .args:
      - .offset:         0
        .size:           8
        .value_kind:     by_value
      - .offset:         8
        .size:           8
        .value_kind:     by_value
      - .offset:         16
        .size:           1
        .value_kind:     by_value
      - .offset:         17
        .size:           1
        .value_kind:     by_value
      - .offset:         18
        .size:           1
        .value_kind:     by_value
      - .offset:         20
        .size:           4
        .value_kind:     by_value
      - .offset:         24
        .size:           4
        .value_kind:     by_value
      - .offset:         32
        .size:           8
        .value_kind:     by_value
      - .offset:         40
        .size:           8
        .value_kind:     by_value
      - .address_space:  global
        .offset:         48
        .size:           8
        .value_kind:     global_buffer
      - .address_space:  global
        .offset:         56
        .size:           8
        .value_kind:     global_buffer
      - .address_space:  global
        .offset:         64
        .size:           8
        .value_kind:     global_buffer
      - .address_space:  global
        .offset:         72
        .size:           8
        .value_kind:     global_buffer
      - .offset:         80
        .size:           8
        .value_kind:     by_value
      - .offset:         88
        .size:           8
        .value_kind:     by_value
      - .address_space:  global
        .offset:         96
        .size:           8
        .value_kind:     global_buffer
      - .offset:         104
        .size:           8
        .value_kind:     by_value
      - .offset:         112
        .size:           8
        .value_kind:     by_value
      - .offset:         120
        .size:           4
        .value_kind:     by_value
      - .offset:         124
        .size:           4
        .value_kind:     by_value
    .group_segment_fixed_size: 2048
    .kernarg_segment_align: 8
    .kernarg_segment_size: 128
    .language:       OpenCL C
    .language_version:
      - 2
      - 0
    .max_flat_workgroup_size: 256
    .name:           _ZN9rocsparse31csrmmnn_row_split_shared_kernelILj256ELj8EfiiDF16_DF16_fEEvNS_24const_host_device_scalarIT1_EES3_bbbT3_S4_llPKT2_PKS4_PKT4_PKT5_llPT6_ll16rocsparse_order_21rocsparse_index_base_
    .private_segment_fixed_size: 0
    .sgpr_count:     38
    .sgpr_spill_count: 0
    .symbol:         _ZN9rocsparse31csrmmnn_row_split_shared_kernelILj256ELj8EfiiDF16_DF16_fEEvNS_24const_host_device_scalarIT1_EES3_bbbT3_S4_llPKT2_PKS4_PKT4_PKT5_llPT6_ll16rocsparse_order_21rocsparse_index_base_.kd
    .uniform_work_group_size: 1
    .uses_dynamic_stack: false
    .vgpr_count:     38
    .vgpr_spill_count: 0
    .wavefront_size: 64
  - .agpr_count:     0
    .args:
      - .offset:         0
        .size:           8
        .value_kind:     by_value
      - .offset:         8
        .size:           8
        .value_kind:     by_value
      - .offset:         16
        .size:           1
        .value_kind:     by_value
      - .offset:         17
        .size:           1
        .value_kind:     by_value
      - .offset:         18
        .size:           1
        .value_kind:     by_value
      - .offset:         20
        .size:           4
        .value_kind:     by_value
      - .offset:         24
        .size:           4
        .value_kind:     by_value
      - .offset:         32
        .size:           8
        .value_kind:     by_value
      - .offset:         40
        .size:           8
        .value_kind:     by_value
      - .address_space:  global
        .offset:         48
        .size:           8
        .value_kind:     global_buffer
      - .address_space:  global
        .offset:         56
        .size:           8
        .value_kind:     global_buffer
      - .address_space:  global
        .offset:         64
        .size:           8
        .value_kind:     global_buffer
      - .address_space:  global
        .offset:         72
        .size:           8
        .value_kind:     global_buffer
      - .offset:         80
        .size:           8
        .value_kind:     by_value
      - .offset:         88
        .size:           8
        .value_kind:     by_value
      - .address_space:  global
        .offset:         96
        .size:           8
        .value_kind:     global_buffer
      - .offset:         104
        .size:           8
        .value_kind:     by_value
      - .offset:         112
        .size:           8
        .value_kind:     by_value
      - .offset:         120
        .size:           4
        .value_kind:     by_value
      - .offset:         124
        .size:           4
        .value_kind:     by_value
    .group_segment_fixed_size: 2048
    .kernarg_segment_align: 8
    .kernarg_segment_size: 128
    .language:       OpenCL C
    .language_version:
      - 2
      - 0
    .max_flat_workgroup_size: 256
    .name:           _ZN9rocsparse31csrmmnn_row_split_shared_kernelILj256ELj8EfliDF16_DF16_fEEvNS_24const_host_device_scalarIT1_EES3_bbbT3_S4_llPKT2_PKS4_PKT4_PKT5_llPT6_ll16rocsparse_order_21rocsparse_index_base_
    .private_segment_fixed_size: 0
    .sgpr_count:     38
    .sgpr_spill_count: 0
    .symbol:         _ZN9rocsparse31csrmmnn_row_split_shared_kernelILj256ELj8EfliDF16_DF16_fEEvNS_24const_host_device_scalarIT1_EES3_bbbT3_S4_llPKT2_PKS4_PKT4_PKT5_llPT6_ll16rocsparse_order_21rocsparse_index_base_.kd
    .uniform_work_group_size: 1
    .uses_dynamic_stack: false
    .vgpr_count:     44
    .vgpr_spill_count: 0
    .wavefront_size: 64
  - .agpr_count:     0
    .args:
      - .offset:         0
        .size:           8
        .value_kind:     by_value
      - .offset:         8
        .size:           8
        .value_kind:     by_value
      - .offset:         16
        .size:           1
        .value_kind:     by_value
      - .offset:         17
        .size:           1
        .value_kind:     by_value
      - .offset:         18
        .size:           1
        .value_kind:     by_value
      - .offset:         24
        .size:           8
        .value_kind:     by_value
      - .offset:         32
        .size:           8
        .value_kind:     by_value
      - .offset:         40
        .size:           8
        .value_kind:     by_value
      - .offset:         48
        .size:           8
        .value_kind:     by_value
      - .address_space:  global
        .offset:         56
        .size:           8
        .value_kind:     global_buffer
      - .address_space:  global
        .offset:         64
        .size:           8
        .value_kind:     global_buffer
      - .address_space:  global
        .offset:         72
        .size:           8
        .value_kind:     global_buffer
      - .address_space:  global
        .offset:         80
        .size:           8
        .value_kind:     global_buffer
      - .offset:         88
        .size:           8
        .value_kind:     by_value
      - .offset:         96
        .size:           8
        .value_kind:     by_value
      - .address_space:  global
        .offset:         104
        .size:           8
        .value_kind:     global_buffer
      - .offset:         112
        .size:           8
        .value_kind:     by_value
      - .offset:         120
        .size:           8
        .value_kind:     by_value
      - .offset:         128
        .size:           4
        .value_kind:     by_value
      - .offset:         132
        .size:           4
        .value_kind:     by_value
    .group_segment_fixed_size: 3072
    .kernarg_segment_align: 8
    .kernarg_segment_size: 136
    .language:       OpenCL C
    .language_version:
      - 2
      - 0
    .max_flat_workgroup_size: 256
    .name:           _ZN9rocsparse31csrmmnn_row_split_shared_kernelILj256ELj8EfllDF16_DF16_fEEvNS_24const_host_device_scalarIT1_EES3_bbbT3_S4_llPKT2_PKS4_PKT4_PKT5_llPT6_ll16rocsparse_order_21rocsparse_index_base_
    .private_segment_fixed_size: 0
    .sgpr_count:     50
    .sgpr_spill_count: 0
    .symbol:         _ZN9rocsparse31csrmmnn_row_split_shared_kernelILj256ELj8EfllDF16_DF16_fEEvNS_24const_host_device_scalarIT1_EES3_bbbT3_S4_llPKT2_PKS4_PKT4_PKT5_llPT6_ll16rocsparse_order_21rocsparse_index_base_.kd
    .uniform_work_group_size: 1
    .uses_dynamic_stack: false
    .vgpr_count:     44
    .vgpr_spill_count: 0
    .wavefront_size: 64
  - .agpr_count:     0
    .args:
      - .offset:         0
        .size:           8
        .value_kind:     by_value
      - .offset:         8
        .size:           8
        .value_kind:     by_value
      - .offset:         16
        .size:           1
        .value_kind:     by_value
      - .offset:         17
        .size:           1
        .value_kind:     by_value
      - .offset:         18
        .size:           1
        .value_kind:     by_value
      - .offset:         20
        .size:           4
        .value_kind:     by_value
      - .offset:         24
        .size:           4
        .value_kind:     by_value
      - .offset:         32
        .size:           8
        .value_kind:     by_value
      - .offset:         40
        .size:           8
        .value_kind:     by_value
      - .address_space:  global
        .offset:         48
        .size:           8
        .value_kind:     global_buffer
      - .address_space:  global
        .offset:         56
        .size:           8
        .value_kind:     global_buffer
      - .address_space:  global
        .offset:         64
        .size:           8
        .value_kind:     global_buffer
      - .address_space:  global
        .offset:         72
        .size:           8
        .value_kind:     global_buffer
      - .offset:         80
        .size:           8
        .value_kind:     by_value
      - .offset:         88
        .size:           8
        .value_kind:     by_value
      - .address_space:  global
        .offset:         96
        .size:           8
        .value_kind:     global_buffer
      - .offset:         104
        .size:           8
        .value_kind:     by_value
      - .offset:         112
        .size:           8
        .value_kind:     by_value
      - .offset:         120
        .size:           4
        .value_kind:     by_value
      - .offset:         124
        .size:           4
        .value_kind:     by_value
    .group_segment_fixed_size: 2048
    .kernarg_segment_align: 8
    .kernarg_segment_size: 128
    .language:       OpenCL C
    .language_version:
      - 2
      - 0
    .max_flat_workgroup_size: 256
    .name:           _ZN9rocsparse31csrmmnn_row_split_shared_kernelILj256ELj8EiiiaaiEEvNS_24const_host_device_scalarIT1_EES3_bbbT3_S4_llPKT2_PKS4_PKT4_PKT5_llPT6_ll16rocsparse_order_21rocsparse_index_base_
    .private_segment_fixed_size: 0
    .sgpr_count:     34
    .sgpr_spill_count: 0
    .symbol:         _ZN9rocsparse31csrmmnn_row_split_shared_kernelILj256ELj8EiiiaaiEEvNS_24const_host_device_scalarIT1_EES3_bbbT3_S4_llPKT2_PKS4_PKT4_PKT5_llPT6_ll16rocsparse_order_21rocsparse_index_base_.kd
    .uniform_work_group_size: 1
    .uses_dynamic_stack: false
    .vgpr_count:     37
    .vgpr_spill_count: 0
    .wavefront_size: 64
  - .agpr_count:     0
    .args:
      - .offset:         0
        .size:           8
        .value_kind:     by_value
      - .offset:         8
        .size:           8
        .value_kind:     by_value
      - .offset:         16
        .size:           1
        .value_kind:     by_value
      - .offset:         17
        .size:           1
        .value_kind:     by_value
      - .offset:         18
        .size:           1
        .value_kind:     by_value
      - .offset:         20
        .size:           4
        .value_kind:     by_value
      - .offset:         24
        .size:           4
        .value_kind:     by_value
      - .offset:         32
        .size:           8
        .value_kind:     by_value
      - .offset:         40
        .size:           8
        .value_kind:     by_value
      - .address_space:  global
        .offset:         48
        .size:           8
        .value_kind:     global_buffer
      - .address_space:  global
        .offset:         56
        .size:           8
        .value_kind:     global_buffer
      - .address_space:  global
        .offset:         64
        .size:           8
        .value_kind:     global_buffer
      - .address_space:  global
        .offset:         72
        .size:           8
        .value_kind:     global_buffer
      - .offset:         80
        .size:           8
        .value_kind:     by_value
      - .offset:         88
        .size:           8
        .value_kind:     by_value
      - .address_space:  global
        .offset:         96
        .size:           8
        .value_kind:     global_buffer
      - .offset:         104
        .size:           8
        .value_kind:     by_value
      - .offset:         112
        .size:           8
        .value_kind:     by_value
      - .offset:         120
        .size:           4
        .value_kind:     by_value
      - .offset:         124
        .size:           4
        .value_kind:     by_value
    .group_segment_fixed_size: 2048
    .kernarg_segment_align: 8
    .kernarg_segment_size: 128
    .language:       OpenCL C
    .language_version:
      - 2
      - 0
    .max_flat_workgroup_size: 256
    .name:           _ZN9rocsparse31csrmmnn_row_split_shared_kernelILj256ELj8EiliaaiEEvNS_24const_host_device_scalarIT1_EES3_bbbT3_S4_llPKT2_PKS4_PKT4_PKT5_llPT6_ll16rocsparse_order_21rocsparse_index_base_
    .private_segment_fixed_size: 0
    .sgpr_count:     34
    .sgpr_spill_count: 0
    .symbol:         _ZN9rocsparse31csrmmnn_row_split_shared_kernelILj256ELj8EiliaaiEEvNS_24const_host_device_scalarIT1_EES3_bbbT3_S4_llPKT2_PKS4_PKT4_PKT5_llPT6_ll16rocsparse_order_21rocsparse_index_base_.kd
    .uniform_work_group_size: 1
    .uses_dynamic_stack: false
    .vgpr_count:     43
    .vgpr_spill_count: 0
    .wavefront_size: 64
  - .agpr_count:     0
    .args:
      - .offset:         0
        .size:           8
        .value_kind:     by_value
      - .offset:         8
        .size:           8
        .value_kind:     by_value
      - .offset:         16
        .size:           1
        .value_kind:     by_value
      - .offset:         17
        .size:           1
        .value_kind:     by_value
      - .offset:         18
        .size:           1
        .value_kind:     by_value
      - .offset:         24
        .size:           8
        .value_kind:     by_value
      - .offset:         32
        .size:           8
        .value_kind:     by_value
      - .offset:         40
        .size:           8
        .value_kind:     by_value
      - .offset:         48
        .size:           8
        .value_kind:     by_value
      - .address_space:  global
        .offset:         56
        .size:           8
        .value_kind:     global_buffer
      - .address_space:  global
        .offset:         64
        .size:           8
        .value_kind:     global_buffer
      - .address_space:  global
        .offset:         72
        .size:           8
        .value_kind:     global_buffer
      - .address_space:  global
        .offset:         80
        .size:           8
        .value_kind:     global_buffer
      - .offset:         88
        .size:           8
        .value_kind:     by_value
      - .offset:         96
        .size:           8
        .value_kind:     by_value
      - .address_space:  global
        .offset:         104
        .size:           8
        .value_kind:     global_buffer
      - .offset:         112
        .size:           8
        .value_kind:     by_value
      - .offset:         120
        .size:           8
        .value_kind:     by_value
      - .offset:         128
        .size:           4
        .value_kind:     by_value
      - .offset:         132
        .size:           4
        .value_kind:     by_value
    .group_segment_fixed_size: 3072
    .kernarg_segment_align: 8
    .kernarg_segment_size: 136
    .language:       OpenCL C
    .language_version:
      - 2
      - 0
    .max_flat_workgroup_size: 256
    .name:           _ZN9rocsparse31csrmmnn_row_split_shared_kernelILj256ELj8EillaaiEEvNS_24const_host_device_scalarIT1_EES3_bbbT3_S4_llPKT2_PKS4_PKT4_PKT5_llPT6_ll16rocsparse_order_21rocsparse_index_base_
    .private_segment_fixed_size: 0
    .sgpr_count:     46
    .sgpr_spill_count: 0
    .symbol:         _ZN9rocsparse31csrmmnn_row_split_shared_kernelILj256ELj8EillaaiEEvNS_24const_host_device_scalarIT1_EES3_bbbT3_S4_llPKT2_PKS4_PKT4_PKT5_llPT6_ll16rocsparse_order_21rocsparse_index_base_.kd
    .uniform_work_group_size: 1
    .uses_dynamic_stack: false
    .vgpr_count:     43
    .vgpr_spill_count: 0
    .wavefront_size: 64
  - .agpr_count:     0
    .args:
      - .offset:         0
        .size:           8
        .value_kind:     by_value
      - .offset:         8
        .size:           8
        .value_kind:     by_value
      - .offset:         16
        .size:           1
        .value_kind:     by_value
      - .offset:         17
        .size:           1
        .value_kind:     by_value
      - .offset:         18
        .size:           1
        .value_kind:     by_value
      - .offset:         20
        .size:           4
        .value_kind:     by_value
      - .offset:         24
        .size:           4
        .value_kind:     by_value
      - .offset:         32
        .size:           8
        .value_kind:     by_value
      - .offset:         40
        .size:           8
        .value_kind:     by_value
      - .address_space:  global
        .offset:         48
        .size:           8
        .value_kind:     global_buffer
      - .address_space:  global
        .offset:         56
        .size:           8
        .value_kind:     global_buffer
      - .address_space:  global
        .offset:         64
        .size:           8
        .value_kind:     global_buffer
      - .address_space:  global
        .offset:         72
        .size:           8
        .value_kind:     global_buffer
      - .offset:         80
        .size:           8
        .value_kind:     by_value
      - .offset:         88
        .size:           8
        .value_kind:     by_value
      - .address_space:  global
        .offset:         96
        .size:           8
        .value_kind:     global_buffer
      - .offset:         104
        .size:           8
        .value_kind:     by_value
      - .offset:         112
        .size:           8
        .value_kind:     by_value
      - .offset:         120
        .size:           4
        .value_kind:     by_value
      - .offset:         124
        .size:           4
        .value_kind:     by_value
    .group_segment_fixed_size: 2048
    .kernarg_segment_align: 8
    .kernarg_segment_size: 128
    .language:       OpenCL C
    .language_version:
      - 2
      - 0
    .max_flat_workgroup_size: 256
    .name:           _ZN9rocsparse31csrmmnn_row_split_shared_kernelILj256ELj8EfiiaafEEvNS_24const_host_device_scalarIT1_EES3_bbbT3_S4_llPKT2_PKS4_PKT4_PKT5_llPT6_ll16rocsparse_order_21rocsparse_index_base_
    .private_segment_fixed_size: 0
    .sgpr_count:     38
    .sgpr_spill_count: 0
    .symbol:         _ZN9rocsparse31csrmmnn_row_split_shared_kernelILj256ELj8EfiiaafEEvNS_24const_host_device_scalarIT1_EES3_bbbT3_S4_llPKT2_PKS4_PKT4_PKT5_llPT6_ll16rocsparse_order_21rocsparse_index_base_.kd
    .uniform_work_group_size: 1
    .uses_dynamic_stack: false
    .vgpr_count:     37
    .vgpr_spill_count: 0
    .wavefront_size: 64
  - .agpr_count:     0
    .args:
      - .offset:         0
        .size:           8
        .value_kind:     by_value
      - .offset:         8
        .size:           8
        .value_kind:     by_value
      - .offset:         16
        .size:           1
        .value_kind:     by_value
      - .offset:         17
        .size:           1
        .value_kind:     by_value
      - .offset:         18
        .size:           1
        .value_kind:     by_value
      - .offset:         20
        .size:           4
        .value_kind:     by_value
      - .offset:         24
        .size:           4
        .value_kind:     by_value
      - .offset:         32
        .size:           8
        .value_kind:     by_value
      - .offset:         40
        .size:           8
        .value_kind:     by_value
      - .address_space:  global
        .offset:         48
        .size:           8
        .value_kind:     global_buffer
      - .address_space:  global
        .offset:         56
        .size:           8
        .value_kind:     global_buffer
      - .address_space:  global
        .offset:         64
        .size:           8
        .value_kind:     global_buffer
      - .address_space:  global
        .offset:         72
        .size:           8
        .value_kind:     global_buffer
      - .offset:         80
        .size:           8
        .value_kind:     by_value
      - .offset:         88
        .size:           8
        .value_kind:     by_value
      - .address_space:  global
        .offset:         96
        .size:           8
        .value_kind:     global_buffer
      - .offset:         104
        .size:           8
        .value_kind:     by_value
      - .offset:         112
        .size:           8
        .value_kind:     by_value
      - .offset:         120
        .size:           4
        .value_kind:     by_value
      - .offset:         124
        .size:           4
        .value_kind:     by_value
    .group_segment_fixed_size: 2048
    .kernarg_segment_align: 8
    .kernarg_segment_size: 128
    .language:       OpenCL C
    .language_version:
      - 2
      - 0
    .max_flat_workgroup_size: 256
    .name:           _ZN9rocsparse31csrmmnn_row_split_shared_kernelILj256ELj8EfliaafEEvNS_24const_host_device_scalarIT1_EES3_bbbT3_S4_llPKT2_PKS4_PKT4_PKT5_llPT6_ll16rocsparse_order_21rocsparse_index_base_
    .private_segment_fixed_size: 0
    .sgpr_count:     38
    .sgpr_spill_count: 0
    .symbol:         _ZN9rocsparse31csrmmnn_row_split_shared_kernelILj256ELj8EfliaafEEvNS_24const_host_device_scalarIT1_EES3_bbbT3_S4_llPKT2_PKS4_PKT4_PKT5_llPT6_ll16rocsparse_order_21rocsparse_index_base_.kd
    .uniform_work_group_size: 1
    .uses_dynamic_stack: false
    .vgpr_count:     43
    .vgpr_spill_count: 0
    .wavefront_size: 64
  - .agpr_count:     0
    .args:
      - .offset:         0
        .size:           8
        .value_kind:     by_value
      - .offset:         8
        .size:           8
        .value_kind:     by_value
      - .offset:         16
        .size:           1
        .value_kind:     by_value
      - .offset:         17
        .size:           1
        .value_kind:     by_value
      - .offset:         18
        .size:           1
        .value_kind:     by_value
      - .offset:         24
        .size:           8
        .value_kind:     by_value
      - .offset:         32
        .size:           8
        .value_kind:     by_value
      - .offset:         40
        .size:           8
        .value_kind:     by_value
      - .offset:         48
        .size:           8
        .value_kind:     by_value
      - .address_space:  global
        .offset:         56
        .size:           8
        .value_kind:     global_buffer
      - .address_space:  global
        .offset:         64
        .size:           8
        .value_kind:     global_buffer
      - .address_space:  global
        .offset:         72
        .size:           8
        .value_kind:     global_buffer
      - .address_space:  global
        .offset:         80
        .size:           8
        .value_kind:     global_buffer
      - .offset:         88
        .size:           8
        .value_kind:     by_value
      - .offset:         96
        .size:           8
        .value_kind:     by_value
      - .address_space:  global
        .offset:         104
        .size:           8
        .value_kind:     global_buffer
      - .offset:         112
        .size:           8
        .value_kind:     by_value
      - .offset:         120
        .size:           8
        .value_kind:     by_value
      - .offset:         128
        .size:           4
        .value_kind:     by_value
      - .offset:         132
        .size:           4
        .value_kind:     by_value
    .group_segment_fixed_size: 3072
    .kernarg_segment_align: 8
    .kernarg_segment_size: 136
    .language:       OpenCL C
    .language_version:
      - 2
      - 0
    .max_flat_workgroup_size: 256
    .name:           _ZN9rocsparse31csrmmnn_row_split_shared_kernelILj256ELj8EfllaafEEvNS_24const_host_device_scalarIT1_EES3_bbbT3_S4_llPKT2_PKS4_PKT4_PKT5_llPT6_ll16rocsparse_order_21rocsparse_index_base_
    .private_segment_fixed_size: 0
    .sgpr_count:     50
    .sgpr_spill_count: 0
    .symbol:         _ZN9rocsparse31csrmmnn_row_split_shared_kernelILj256ELj8EfllaafEEvNS_24const_host_device_scalarIT1_EES3_bbbT3_S4_llPKT2_PKS4_PKT4_PKT5_llPT6_ll16rocsparse_order_21rocsparse_index_base_.kd
    .uniform_work_group_size: 1
    .uses_dynamic_stack: false
    .vgpr_count:     43
    .vgpr_spill_count: 0
    .wavefront_size: 64
amdhsa.target:   amdgcn-amd-amdhsa--gfx950
amdhsa.version:
  - 1
  - 2
...

	.end_amdgpu_metadata
